;; amdgpu-corpus repo=ROCm/rocFFT kind=compiled arch=gfx1201 opt=O3
	.text
	.amdgcn_target "amdgcn-amd-amdhsa--gfx1201"
	.amdhsa_code_object_version 6
	.protected	fft_rtc_back_len3456_factors_6_6_6_4_4_wgs_144_tpt_144_halfLds_dp_ip_CI_sbrr_dirReg ; -- Begin function fft_rtc_back_len3456_factors_6_6_6_4_4_wgs_144_tpt_144_halfLds_dp_ip_CI_sbrr_dirReg
	.globl	fft_rtc_back_len3456_factors_6_6_6_4_4_wgs_144_tpt_144_halfLds_dp_ip_CI_sbrr_dirReg
	.p2align	8
	.type	fft_rtc_back_len3456_factors_6_6_6_4_4_wgs_144_tpt_144_halfLds_dp_ip_CI_sbrr_dirReg,@function
fft_rtc_back_len3456_factors_6_6_6_4_4_wgs_144_tpt_144_halfLds_dp_ip_CI_sbrr_dirReg: ; @fft_rtc_back_len3456_factors_6_6_6_4_4_wgs_144_tpt_144_halfLds_dp_ip_CI_sbrr_dirReg
; %bb.0:
	s_clause 0x2
	s_load_b64 s[12:13], s[0:1], 0x18
	s_load_b128 s[4:7], s[0:1], 0x0
	s_load_b64 s[10:11], s[0:1], 0x50
	v_mul_u32_u24_e32 v1, 0x1c8, v0
	v_mov_b32_e32 v3, 0
	s_delay_alu instid0(VALU_DEP_2) | instskip(NEXT) | instid1(VALU_DEP_1)
	v_lshrrev_b32_e32 v1, 16, v1
	v_add_nc_u32_e32 v5, ttmp9, v1
	v_mov_b32_e32 v1, 0
	v_mov_b32_e32 v2, 0
	;; [unrolled: 1-line block ×3, first 2 shown]
	s_wait_kmcnt 0x0
	s_load_b64 s[8:9], s[12:13], 0x0
	v_cmp_lt_u64_e64 s2, s[6:7], 2
	s_delay_alu instid0(VALU_DEP_1)
	s_and_b32 vcc_lo, exec_lo, s2
	s_cbranch_vccnz .LBB0_8
; %bb.1:
	s_load_b64 s[2:3], s[0:1], 0x10
	v_mov_b32_e32 v1, 0
	v_mov_b32_e32 v2, 0
	s_add_nc_u64 s[14:15], s[12:13], 8
	s_mov_b64 s[16:17], 1
	s_wait_kmcnt 0x0
	s_add_nc_u64 s[18:19], s[2:3], 8
	s_mov_b32 s3, 0
.LBB0_2:                                ; =>This Inner Loop Header: Depth=1
	s_load_b64 s[20:21], s[18:19], 0x0
                                        ; implicit-def: $vgpr7_vgpr8
	s_mov_b32 s2, exec_lo
	s_wait_kmcnt 0x0
	v_or_b32_e32 v4, s21, v6
	s_delay_alu instid0(VALU_DEP_1)
	v_cmpx_ne_u64_e32 0, v[3:4]
	s_wait_alu 0xfffe
	s_xor_b32 s22, exec_lo, s2
	s_cbranch_execz .LBB0_4
; %bb.3:                                ;   in Loop: Header=BB0_2 Depth=1
	s_cvt_f32_u32 s2, s20
	s_cvt_f32_u32 s23, s21
	s_sub_nc_u64 s[26:27], 0, s[20:21]
	s_wait_alu 0xfffe
	s_delay_alu instid0(SALU_CYCLE_1) | instskip(SKIP_1) | instid1(SALU_CYCLE_2)
	s_fmamk_f32 s2, s23, 0x4f800000, s2
	s_wait_alu 0xfffe
	v_s_rcp_f32 s2, s2
	s_delay_alu instid0(TRANS32_DEP_1) | instskip(SKIP_1) | instid1(SALU_CYCLE_2)
	s_mul_f32 s2, s2, 0x5f7ffffc
	s_wait_alu 0xfffe
	s_mul_f32 s23, s2, 0x2f800000
	s_wait_alu 0xfffe
	s_delay_alu instid0(SALU_CYCLE_2) | instskip(SKIP_1) | instid1(SALU_CYCLE_2)
	s_trunc_f32 s23, s23
	s_wait_alu 0xfffe
	s_fmamk_f32 s2, s23, 0xcf800000, s2
	s_cvt_u32_f32 s25, s23
	s_wait_alu 0xfffe
	s_delay_alu instid0(SALU_CYCLE_1) | instskip(SKIP_1) | instid1(SALU_CYCLE_2)
	s_cvt_u32_f32 s24, s2
	s_wait_alu 0xfffe
	s_mul_u64 s[28:29], s[26:27], s[24:25]
	s_wait_alu 0xfffe
	s_mul_hi_u32 s31, s24, s29
	s_mul_i32 s30, s24, s29
	s_mul_hi_u32 s2, s24, s28
	s_mul_i32 s33, s25, s28
	s_wait_alu 0xfffe
	s_add_nc_u64 s[30:31], s[2:3], s[30:31]
	s_mul_hi_u32 s23, s25, s28
	s_mul_hi_u32 s34, s25, s29
	s_add_co_u32 s2, s30, s33
	s_wait_alu 0xfffe
	s_add_co_ci_u32 s2, s31, s23
	s_mul_i32 s28, s25, s29
	s_add_co_ci_u32 s29, s34, 0
	s_wait_alu 0xfffe
	s_add_nc_u64 s[28:29], s[2:3], s[28:29]
	s_wait_alu 0xfffe
	v_add_co_u32 v4, s2, s24, s28
	s_delay_alu instid0(VALU_DEP_1) | instskip(SKIP_1) | instid1(VALU_DEP_1)
	s_cmp_lg_u32 s2, 0
	s_add_co_ci_u32 s25, s25, s29
	v_readfirstlane_b32 s24, v4
	s_wait_alu 0xfffe
	s_delay_alu instid0(VALU_DEP_1)
	s_mul_u64 s[26:27], s[26:27], s[24:25]
	s_wait_alu 0xfffe
	s_mul_hi_u32 s29, s24, s27
	s_mul_i32 s28, s24, s27
	s_mul_hi_u32 s2, s24, s26
	s_mul_i32 s30, s25, s26
	s_wait_alu 0xfffe
	s_add_nc_u64 s[28:29], s[2:3], s[28:29]
	s_mul_hi_u32 s23, s25, s26
	s_mul_hi_u32 s24, s25, s27
	s_wait_alu 0xfffe
	s_add_co_u32 s2, s28, s30
	s_add_co_ci_u32 s2, s29, s23
	s_mul_i32 s26, s25, s27
	s_add_co_ci_u32 s27, s24, 0
	s_wait_alu 0xfffe
	s_add_nc_u64 s[26:27], s[2:3], s[26:27]
	s_wait_alu 0xfffe
	v_add_co_u32 v4, s2, v4, s26
	s_delay_alu instid0(VALU_DEP_1) | instskip(SKIP_1) | instid1(VALU_DEP_1)
	s_cmp_lg_u32 s2, 0
	s_add_co_ci_u32 s2, s25, s27
	v_mul_hi_u32 v13, v5, v4
	s_wait_alu 0xfffe
	v_mad_co_u64_u32 v[7:8], null, v5, s2, 0
	v_mad_co_u64_u32 v[9:10], null, v6, v4, 0
	;; [unrolled: 1-line block ×3, first 2 shown]
	s_delay_alu instid0(VALU_DEP_3) | instskip(SKIP_1) | instid1(VALU_DEP_4)
	v_add_co_u32 v4, vcc_lo, v13, v7
	s_wait_alu 0xfffd
	v_add_co_ci_u32_e32 v7, vcc_lo, 0, v8, vcc_lo
	s_delay_alu instid0(VALU_DEP_2) | instskip(SKIP_1) | instid1(VALU_DEP_2)
	v_add_co_u32 v4, vcc_lo, v4, v9
	s_wait_alu 0xfffd
	v_add_co_ci_u32_e32 v4, vcc_lo, v7, v10, vcc_lo
	s_wait_alu 0xfffd
	v_add_co_ci_u32_e32 v7, vcc_lo, 0, v12, vcc_lo
	s_delay_alu instid0(VALU_DEP_2) | instskip(SKIP_1) | instid1(VALU_DEP_2)
	v_add_co_u32 v4, vcc_lo, v4, v11
	s_wait_alu 0xfffd
	v_add_co_ci_u32_e32 v9, vcc_lo, 0, v7, vcc_lo
	s_delay_alu instid0(VALU_DEP_2) | instskip(SKIP_1) | instid1(VALU_DEP_3)
	v_mul_lo_u32 v10, s21, v4
	v_mad_co_u64_u32 v[7:8], null, s20, v4, 0
	v_mul_lo_u32 v11, s20, v9
	s_delay_alu instid0(VALU_DEP_2) | instskip(NEXT) | instid1(VALU_DEP_2)
	v_sub_co_u32 v7, vcc_lo, v5, v7
	v_add3_u32 v8, v8, v11, v10
	s_delay_alu instid0(VALU_DEP_1) | instskip(SKIP_1) | instid1(VALU_DEP_1)
	v_sub_nc_u32_e32 v10, v6, v8
	s_wait_alu 0xfffd
	v_subrev_co_ci_u32_e64 v10, s2, s21, v10, vcc_lo
	v_add_co_u32 v11, s2, v4, 2
	s_wait_alu 0xf1ff
	v_add_co_ci_u32_e64 v12, s2, 0, v9, s2
	v_sub_co_u32 v13, s2, v7, s20
	v_sub_co_ci_u32_e32 v8, vcc_lo, v6, v8, vcc_lo
	s_wait_alu 0xf1ff
	v_subrev_co_ci_u32_e64 v10, s2, 0, v10, s2
	s_delay_alu instid0(VALU_DEP_3) | instskip(NEXT) | instid1(VALU_DEP_3)
	v_cmp_le_u32_e32 vcc_lo, s20, v13
	v_cmp_eq_u32_e64 s2, s21, v8
	s_wait_alu 0xfffd
	v_cndmask_b32_e64 v13, 0, -1, vcc_lo
	v_cmp_le_u32_e32 vcc_lo, s21, v10
	s_wait_alu 0xfffd
	v_cndmask_b32_e64 v14, 0, -1, vcc_lo
	v_cmp_le_u32_e32 vcc_lo, s20, v7
	;; [unrolled: 3-line block ×3, first 2 shown]
	s_wait_alu 0xfffd
	v_cndmask_b32_e64 v15, 0, -1, vcc_lo
	v_cmp_eq_u32_e32 vcc_lo, s21, v10
	s_wait_alu 0xf1ff
	s_delay_alu instid0(VALU_DEP_2)
	v_cndmask_b32_e64 v7, v15, v7, s2
	s_wait_alu 0xfffd
	v_cndmask_b32_e32 v10, v14, v13, vcc_lo
	v_add_co_u32 v13, vcc_lo, v4, 1
	s_wait_alu 0xfffd
	v_add_co_ci_u32_e32 v14, vcc_lo, 0, v9, vcc_lo
	s_delay_alu instid0(VALU_DEP_3) | instskip(SKIP_2) | instid1(VALU_DEP_3)
	v_cmp_ne_u32_e32 vcc_lo, 0, v10
	s_wait_alu 0xfffd
	v_cndmask_b32_e32 v10, v13, v11, vcc_lo
	v_cndmask_b32_e32 v8, v14, v12, vcc_lo
	v_cmp_ne_u32_e32 vcc_lo, 0, v7
	s_wait_alu 0xfffd
	s_delay_alu instid0(VALU_DEP_2)
	v_dual_cndmask_b32 v7, v4, v10 :: v_dual_cndmask_b32 v8, v9, v8
.LBB0_4:                                ;   in Loop: Header=BB0_2 Depth=1
	s_wait_alu 0xfffe
	s_and_not1_saveexec_b32 s2, s22
	s_cbranch_execz .LBB0_6
; %bb.5:                                ;   in Loop: Header=BB0_2 Depth=1
	v_cvt_f32_u32_e32 v4, s20
	s_sub_co_i32 s22, 0, s20
	s_delay_alu instid0(VALU_DEP_1) | instskip(NEXT) | instid1(TRANS32_DEP_1)
	v_rcp_iflag_f32_e32 v4, v4
	v_mul_f32_e32 v4, 0x4f7ffffe, v4
	s_delay_alu instid0(VALU_DEP_1) | instskip(SKIP_1) | instid1(VALU_DEP_1)
	v_cvt_u32_f32_e32 v4, v4
	s_wait_alu 0xfffe
	v_mul_lo_u32 v7, s22, v4
	s_delay_alu instid0(VALU_DEP_1) | instskip(NEXT) | instid1(VALU_DEP_1)
	v_mul_hi_u32 v7, v4, v7
	v_add_nc_u32_e32 v4, v4, v7
	s_delay_alu instid0(VALU_DEP_1) | instskip(NEXT) | instid1(VALU_DEP_1)
	v_mul_hi_u32 v4, v5, v4
	v_mul_lo_u32 v7, v4, s20
	v_add_nc_u32_e32 v8, 1, v4
	s_delay_alu instid0(VALU_DEP_2) | instskip(NEXT) | instid1(VALU_DEP_1)
	v_sub_nc_u32_e32 v7, v5, v7
	v_subrev_nc_u32_e32 v9, s20, v7
	v_cmp_le_u32_e32 vcc_lo, s20, v7
	s_wait_alu 0xfffd
	s_delay_alu instid0(VALU_DEP_2) | instskip(NEXT) | instid1(VALU_DEP_1)
	v_dual_cndmask_b32 v7, v7, v9 :: v_dual_cndmask_b32 v4, v4, v8
	v_cmp_le_u32_e32 vcc_lo, s20, v7
	s_delay_alu instid0(VALU_DEP_2) | instskip(SKIP_1) | instid1(VALU_DEP_1)
	v_add_nc_u32_e32 v8, 1, v4
	s_wait_alu 0xfffd
	v_dual_cndmask_b32 v7, v4, v8 :: v_dual_mov_b32 v8, v3
.LBB0_6:                                ;   in Loop: Header=BB0_2 Depth=1
	s_wait_alu 0xfffe
	s_or_b32 exec_lo, exec_lo, s2
	s_load_b64 s[22:23], s[14:15], 0x0
	s_delay_alu instid0(VALU_DEP_1)
	v_mul_lo_u32 v4, v8, s20
	v_mul_lo_u32 v11, v7, s21
	v_mad_co_u64_u32 v[9:10], null, v7, s20, 0
	s_add_nc_u64 s[16:17], s[16:17], 1
	s_add_nc_u64 s[14:15], s[14:15], 8
	s_wait_alu 0xfffe
	v_cmp_ge_u64_e64 s2, s[16:17], s[6:7]
	s_add_nc_u64 s[18:19], s[18:19], 8
	s_delay_alu instid0(VALU_DEP_2) | instskip(NEXT) | instid1(VALU_DEP_3)
	v_add3_u32 v4, v10, v11, v4
	v_sub_co_u32 v5, vcc_lo, v5, v9
	s_wait_alu 0xfffd
	s_delay_alu instid0(VALU_DEP_2) | instskip(SKIP_3) | instid1(VALU_DEP_2)
	v_sub_co_ci_u32_e32 v4, vcc_lo, v6, v4, vcc_lo
	s_and_b32 vcc_lo, exec_lo, s2
	s_wait_kmcnt 0x0
	v_mul_lo_u32 v6, s23, v5
	v_mul_lo_u32 v4, s22, v4
	v_mad_co_u64_u32 v[1:2], null, s22, v5, v[1:2]
	s_delay_alu instid0(VALU_DEP_1)
	v_add3_u32 v2, v6, v2, v4
	s_wait_alu 0xfffe
	s_cbranch_vccnz .LBB0_9
; %bb.7:                                ;   in Loop: Header=BB0_2 Depth=1
	v_dual_mov_b32 v5, v7 :: v_dual_mov_b32 v6, v8
	s_branch .LBB0_2
.LBB0_8:
	v_dual_mov_b32 v8, v6 :: v_dual_mov_b32 v7, v5
.LBB0_9:
	s_lshl_b64 s[2:3], s[6:7], 3
	v_mul_hi_u32 v3, 0x1c71c72, v0
	s_wait_alu 0xfffe
	s_add_nc_u64 s[2:3], s[12:13], s[2:3]
	s_load_b64 s[0:1], s[0:1], 0x20
	s_load_b64 s[2:3], s[2:3], 0x0
                                        ; implicit-def: $vgpr164
                                        ; implicit-def: $vgpr151
                                        ; implicit-def: $vgpr150
                                        ; implicit-def: $vgpr169
                                        ; implicit-def: $vgpr171
	s_delay_alu instid0(VALU_DEP_1) | instskip(NEXT) | instid1(VALU_DEP_1)
	v_mul_u32_u24_e32 v3, 0x90, v3
	v_sub_nc_u32_e32 v157, v0, v3
	s_delay_alu instid0(VALU_DEP_1)
	v_add_nc_u32_e32 v156, 0x90, v157
	v_add_nc_u32_e32 v152, 0x120, v157
	;; [unrolled: 1-line block ×4, first 2 shown]
	s_wait_kmcnt 0x0
	v_cmp_gt_u64_e32 vcc_lo, s[0:1], v[7:8]
	v_mul_lo_u32 v3, s2, v8
	v_mul_lo_u32 v4, s3, v7
	v_mad_co_u64_u32 v[0:1], null, s2, v7, v[1:2]
	v_cmp_le_u64_e64 s0, s[0:1], v[7:8]
	v_add_nc_u32_e32 v155, 0x2d0, v157
	s_delay_alu instid0(VALU_DEP_3) | instskip(NEXT) | instid1(VALU_DEP_3)
	v_add3_u32 v1, v4, v1, v3
	s_and_saveexec_b32 s1, s0
	s_wait_alu 0xfffe
	s_xor_b32 s0, exec_lo, s1
; %bb.10:
	v_add_nc_u32_e32 v164, 0x90, v157
	v_add_nc_u32_e32 v151, 0x120, v157
	v_add_nc_u32_e32 v150, 0x1b0, v157
	v_add_nc_u32_e32 v169, 0x240, v157
	v_add_nc_u32_e32 v171, 0x2d0, v157
; %bb.11:
	s_wait_alu 0xfffe
	s_or_saveexec_b32 s1, s0
	v_lshlrev_b64_e32 v[136:137], 4, v[0:1]
	v_add_nc_u32_e32 v161, 0x6c0, v157
	v_add_nc_u32_e32 v158, 0x750, v157
	;; [unrolled: 1-line block ×6, first 2 shown]
                                        ; implicit-def: $vgpr18_vgpr19
                                        ; implicit-def: $vgpr22_vgpr23
                                        ; implicit-def: $vgpr6_vgpr7
                                        ; implicit-def: $vgpr14_vgpr15
                                        ; implicit-def: $vgpr30_vgpr31
                                        ; implicit-def: $vgpr38_vgpr39
                                        ; implicit-def: $vgpr86_vgpr87
                                        ; implicit-def: $vgpr90_vgpr91
                                        ; implicit-def: $vgpr50_vgpr51
                                        ; implicit-def: $vgpr58_vgpr59
                                        ; implicit-def: $vgpr74_vgpr75
                                        ; implicit-def: $vgpr62_vgpr63
                                        ; implicit-def: $vgpr54_vgpr55
                                        ; implicit-def: $vgpr82_vgpr83
                                        ; implicit-def: $vgpr78_vgpr79
                                        ; implicit-def: $vgpr66_vgpr67
                                        ; implicit-def: $vgpr94_vgpr95
                                        ; implicit-def: $vgpr70_vgpr71
                                        ; implicit-def: $vgpr46_vgpr47
                                        ; implicit-def: $vgpr42_vgpr43
                                        ; implicit-def: $vgpr34_vgpr35
                                        ; implicit-def: $vgpr10_vgpr11
                                        ; implicit-def: $vgpr26_vgpr27
                                        ; implicit-def: $vgpr2_vgpr3
	s_wait_alu 0xfffe
	s_xor_b32 exec_lo, exec_lo, s1
	s_cbranch_execz .LBB0_13
; %bb.12:
	v_mad_co_u64_u32 v[0:1], null, s8, v157, 0
	v_mad_co_u64_u32 v[2:3], null, s8, v154, 0
	v_add_co_u32 v48, s0, s10, v136
	s_wait_alu 0xf1ff
	v_add_co_ci_u32_e64 v49, s0, s11, v137, s0
	v_or_b32_e32 v20, 0x900, v157
	v_add_nc_u32_e32 v21, 0xb40, v157
	v_mad_co_u64_u32 v[4:5], null, s9, v157, v[1:2]
	v_add_nc_u32_e32 v10, 0x480, v157
	v_mad_co_u64_u32 v[28:29], null, s8, v155, 0
	s_delay_alu instid0(VALU_DEP_4) | instskip(SKIP_4) | instid1(VALU_DEP_3)
	v_mad_co_u64_u32 v[12:13], null, s8, v21, 0
	v_mad_co_u64_u32 v[32:33], null, s8, v158, 0
	v_mov_b32_e32 v1, v4
	v_mad_co_u64_u32 v[5:6], null, s9, v154, v[3:4]
	v_mad_co_u64_u32 v[6:7], null, s8, v10, 0
	v_lshlrev_b64_e32 v[0:1], 4, v[0:1]
	v_mad_co_u64_u32 v[44:45], null, s8, v152, 0
	v_add_nc_u32_e32 v57, 0x5a0, v157
	v_mov_b32_e32 v3, v5
	v_mad_co_u64_u32 v[4:5], null, s8, v161, 0
	v_add_co_u32 v0, s0, v48, v0
	s_delay_alu instid0(VALU_DEP_3) | instskip(SKIP_4) | instid1(VALU_DEP_4)
	v_lshlrev_b64_e32 v[2:3], 4, v[2:3]
	s_wait_alu 0xf1ff
	v_add_co_ci_u32_e64 v1, s0, v49, v1, s0
	v_dual_mov_b32 v150, v153 :: v_dual_add_nc_u32 v59, 0x7e0, v157
	v_mov_b32_e32 v171, v155
	v_add_co_u32 v8, s0, v48, v2
	s_wait_alu 0xf1ff
	v_add_co_ci_u32_e64 v9, s0, v49, v3, s0
	v_add_nc_u32_e32 v36, 0x510, v157
	s_delay_alu instid0(VALU_DEP_3) | instskip(SKIP_3) | instid1(VALU_DEP_3)
	v_mad_co_u64_u32 v[2:3], null, s9, v10, v[7:8]
	v_mov_b32_e32 v3, v5
	v_mad_co_u64_u32 v[10:11], null, s8, v20, 0
	v_mad_co_u64_u32 v[55:56], null, s8, v59, 0
	;; [unrolled: 1-line block ×3, first 2 shown]
	v_mov_b32_e32 v7, v2
	s_clause 0x1
	global_load_b128 v[0:3], v[0:1], off
	global_load_b128 v[16:19], v[8:9], off
	v_dual_mov_b32 v8, v11 :: v_dual_mov_b32 v9, v13
	v_mov_b32_e32 v169, v154
	v_lshlrev_b64_e32 v[6:7], 4, v[6:7]
	v_mov_b32_e32 v5, v14
	v_mov_b32_e32 v151, v152
	v_mad_co_u64_u32 v[13:14], null, s9, v20, v[8:9]
	v_mad_co_u64_u32 v[8:9], null, s9, v21, v[9:10]
	;; [unrolled: 1-line block ×3, first 2 shown]
	v_lshlrev_b64_e32 v[4:5], 4, v[4:5]
	v_add_co_u32 v6, s0, v48, v6
	v_mov_b32_e32 v11, v13
	v_mov_b32_e32 v13, v8
	s_wait_alu 0xf1ff
	v_add_co_ci_u32_e64 v7, s0, v49, v7, s0
	v_mov_b32_e32 v8, v15
	v_lshlrev_b64_e32 v[9:10], 4, v[10:11]
	v_add_co_u32 v4, s0, v48, v4
	s_wait_alu 0xf1ff
	v_add_co_ci_u32_e64 v5, s0, v49, v5, s0
	v_lshlrev_b64_e32 v[11:12], 4, v[12:13]
	s_delay_alu instid0(VALU_DEP_4)
	v_mad_co_u64_u32 v[20:21], null, s9, v156, v[8:9]
	v_add_co_u32 v8, s0, v48, v9
	s_wait_alu 0xf1ff
	v_add_co_ci_u32_e64 v9, s0, v49, v10, s0
	v_mov_b32_e32 v10, v29
	v_add_co_u32 v30, s0, v48, v11
	v_mov_b32_e32 v15, v20
	s_wait_alu 0xf1ff
	v_add_co_ci_u32_e64 v31, s0, v49, v12, s0
	v_mad_co_u64_u32 v[12:13], null, s8, v36, 0
	v_mad_co_u64_u32 v[34:35], null, s9, v155, v[10:11]
	v_lshlrev_b64_e32 v[14:15], 4, v[14:15]
	s_clause 0x3
	global_load_b128 v[20:23], v[6:7], off
	global_load_b128 v[24:27], v[4:5], off
	;; [unrolled: 1-line block ×4, first 2 shown]
	v_dual_mov_b32 v30, v33 :: v_dual_add_nc_u32 v35, 0xbd0, v157
	v_add_nc_u32_e32 v68, 0x630, v157
	v_dual_mov_b32 v164, v156 :: v_dual_mov_b32 v29, v34
	v_mad_co_u64_u32 v[33:34], null, s9, v36, v[13:14]
	s_delay_alu instid0(VALU_DEP_4) | instskip(SKIP_1) | instid1(VALU_DEP_4)
	v_mad_co_u64_u32 v[30:31], null, s9, v158, v[30:31]
	v_add_nc_u32_e32 v34, 0x990, v157
	v_lshlrev_b64_e32 v[28:29], 4, v[28:29]
	v_add_co_u32 v14, s0, v48, v14
	v_mov_b32_e32 v13, v33
	s_delay_alu instid0(VALU_DEP_4)
	v_mad_co_u64_u32 v[36:37], null, s8, v34, 0
	v_mov_b32_e32 v33, v30
	s_wait_alu 0xf1ff
	v_add_co_ci_u32_e64 v15, s0, v49, v15, s0
	v_lshlrev_b64_e32 v[12:13], 4, v[12:13]
	v_add_co_u32 v28, s0, v48, v28
	v_lshlrev_b64_e32 v[30:31], 4, v[32:33]
	v_mad_co_u64_u32 v[38:39], null, s8, v35, 0
	v_mov_b32_e32 v32, v37
	s_wait_alu 0xf1ff
	v_add_co_ci_u32_e64 v29, s0, v49, v29, s0
	v_add_co_u32 v40, s0, v48, v12
	s_wait_alu 0xf1ff
	v_add_co_ci_u32_e64 v41, s0, v49, v13, s0
	v_mad_co_u64_u32 v[12:13], null, s9, v34, v[32:33]
	v_mov_b32_e32 v13, v39
	v_add_co_u32 v30, s0, v48, v30
	s_wait_alu 0xf1ff
	v_add_co_ci_u32_e64 v31, s0, v49, v31, s0
	s_delay_alu instid0(VALU_DEP_3)
	v_mad_co_u64_u32 v[46:47], null, s9, v35, v[13:14]
	v_mov_b32_e32 v37, v12
	s_clause 0x3
	global_load_b128 v[12:15], v[14:15], off
	global_load_b128 v[32:35], v[28:29], off
	;; [unrolled: 1-line block ×4, first 2 shown]
	v_lshlrev_b64_e32 v[36:37], 4, v[36:37]
	v_mov_b32_e32 v39, v46
	v_mad_co_u64_u32 v[46:47], null, s8, v163, 0
	s_delay_alu instid0(VALU_DEP_2) | instskip(NEXT) | instid1(VALU_DEP_4)
	v_lshlrev_b64_e32 v[38:39], 4, v[38:39]
	v_add_co_u32 v36, s0, v48, v36
	s_wait_alu 0xf1ff
	v_add_co_ci_u32_e64 v37, s0, v49, v37, s0
	s_delay_alu instid0(VALU_DEP_4) | instskip(SKIP_4) | instid1(VALU_DEP_4)
	v_mad_co_u64_u32 v[50:51], null, s9, v152, v[45:46]
	v_mad_co_u64_u32 v[52:53], null, s9, v163, v[47:48]
	v_add_co_u32 v53, s0, v48, v38
	s_wait_alu 0xf1ff
	v_add_co_ci_u32_e64 v54, s0, v49, v39, s0
	v_mov_b32_e32 v45, v50
	v_mad_co_u64_u32 v[50:51], null, s8, v57, 0
	v_dual_mov_b32 v47, v52 :: v_dual_add_nc_u32 v52, 0xc60, v157
	s_delay_alu instid0(VALU_DEP_3) | instskip(NEXT) | instid1(VALU_DEP_3)
	v_lshlrev_b64_e32 v[44:45], 4, v[44:45]
	v_mov_b32_e32 v38, v51
	s_delay_alu instid0(VALU_DEP_1) | instskip(NEXT) | instid1(VALU_DEP_3)
	v_mad_co_u64_u32 v[38:39], null, s9, v57, v[38:39]
	v_add_co_u32 v57, s0, v48, v44
	s_wait_alu 0xf1ff
	s_delay_alu instid0(VALU_DEP_4)
	v_add_co_ci_u32_e64 v58, s0, v49, v45, s0
	v_lshlrev_b64_e32 v[44:45], 4, v[46:47]
	v_mov_b32_e32 v39, v56
	v_mad_co_u64_u32 v[46:47], null, s8, v162, 0
	v_mov_b32_e32 v51, v38
	s_wait_loadcnt 0x1
	s_delay_alu instid0(VALU_DEP_3) | instskip(SKIP_1) | instid1(VALU_DEP_4)
	v_mad_co_u64_u32 v[38:39], null, s9, v59, v[39:40]
	v_add_co_u32 v59, s0, v48, v44
	v_mov_b32_e32 v39, v47
	s_wait_alu 0xf1ff
	v_add_co_ci_u32_e64 v60, s0, v49, v45, s0
	v_lshlrev_b64_e32 v[44:45], 4, v[50:51]
	v_mad_co_u64_u32 v[50:51], null, s8, v52, 0
	v_mov_b32_e32 v56, v38
	v_mad_co_u64_u32 v[38:39], null, s9, v162, v[39:40]
	s_delay_alu instid0(VALU_DEP_4)
	v_add_co_u32 v61, s0, v48, v44
	s_wait_alu 0xf1ff
	v_add_co_ci_u32_e64 v62, s0, v49, v45, s0
	v_lshlrev_b64_e32 v[44:45], 4, v[55:56]
	v_mov_b32_e32 v39, v51
	v_mad_co_u64_u32 v[55:56], null, s8, v153, 0
	v_mov_b32_e32 v47, v38
	s_delay_alu instid0(VALU_DEP_4) | instskip(NEXT) | instid1(VALU_DEP_4)
	v_add_co_u32 v63, s0, v48, v44
	v_mad_co_u64_u32 v[51:52], null, s9, v52, v[39:40]
	s_wait_alu 0xf1ff
	v_add_co_ci_u32_e64 v64, s0, v49, v45, s0
	v_lshlrev_b64_e32 v[38:39], 4, v[46:47]
	v_mad_co_u64_u32 v[45:46], null, s8, v160, 0
	v_mov_b32_e32 v44, v56
	s_delay_alu instid0(VALU_DEP_1) | instskip(NEXT) | instid1(VALU_DEP_4)
	v_mad_co_u64_u32 v[65:66], null, s9, v153, v[44:45]
	v_add_co_u32 v66, s0, v48, v38
	s_wait_alu 0xf1ff
	v_add_co_ci_u32_e64 v67, s0, v49, v39, s0
	v_lshlrev_b64_e32 v[38:39], 4, v[50:51]
	v_mad_co_u64_u32 v[50:51], null, s8, v68, 0
	v_mov_b32_e32 v44, v46
	v_mov_b32_e32 v56, v65
	s_delay_alu instid0(VALU_DEP_4) | instskip(NEXT) | instid1(VALU_DEP_3)
	v_add_co_u32 v72, s0, v48, v38
	v_mad_co_u64_u32 v[46:47], null, s9, v160, v[44:45]
	v_dual_mov_b32 v38, v51 :: v_dual_add_nc_u32 v47, 0x870, v157
	s_delay_alu instid0(VALU_DEP_4) | instskip(SKIP_2) | instid1(VALU_DEP_3)
	v_lshlrev_b64_e32 v[51:52], 4, v[55:56]
	s_wait_alu 0xf1ff
	v_add_co_ci_u32_e64 v73, s0, v49, v39, s0
	v_mad_co_u64_u32 v[55:56], null, s8, v47, 0
	v_mad_co_u64_u32 v[38:39], null, s9, v68, v[38:39]
	s_delay_alu instid0(VALU_DEP_4)
	v_add_co_u32 v74, s0, v48, v51
	s_wait_alu 0xf1ff
	v_add_co_ci_u32_e64 v75, s0, v49, v52, s0
	v_add_nc_u32_e32 v52, 0xcf0, v157
	v_mad_co_u64_u32 v[68:69], null, s8, v159, 0
	v_mov_b32_e32 v39, v56
	v_lshlrev_b64_e32 v[44:45], 4, v[45:46]
	s_delay_alu instid0(VALU_DEP_4) | instskip(SKIP_1) | instid1(VALU_DEP_4)
	v_mad_co_u64_u32 v[70:71], null, s8, v52, 0
	v_mov_b32_e32 v51, v38
	v_mad_co_u64_u32 v[38:39], null, s9, v47, v[39:40]
	v_mov_b32_e32 v39, v69
	v_add_co_u32 v76, s0, v48, v44
	v_mov_b32_e32 v44, v71
	v_lshlrev_b64_e32 v[50:51], 4, v[50:51]
	s_delay_alu instid0(VALU_DEP_4) | instskip(SKIP_1) | instid1(VALU_DEP_4)
	v_mad_co_u64_u32 v[78:79], null, s9, v159, v[39:40]
	v_mov_b32_e32 v56, v38
	v_mad_co_u64_u32 v[79:80], null, s9, v52, v[44:45]
	s_wait_alu 0xf1ff
	v_add_co_ci_u32_e64 v77, s0, v49, v45, s0
	s_clause 0x1
	global_load_b128 v[36:39], v[36:37], off
	global_load_b128 v[44:47], v[53:54], off
	v_mov_b32_e32 v69, v78
	v_lshlrev_b64_e32 v[52:53], 4, v[55:56]
	v_add_co_u32 v54, s0, v48, v50
	v_mov_b32_e32 v71, v79
	s_wait_alu 0xf1ff
	v_add_co_ci_u32_e64 v55, s0, v49, v51, s0
	v_lshlrev_b64_e32 v[50:51], 4, v[68:69]
	v_add_co_u32 v52, s0, v48, v52
	v_lshlrev_b64_e32 v[68:69], 4, v[70:71]
	s_wait_alu 0xf1ff
	v_add_co_ci_u32_e64 v53, s0, v49, v53, s0
	s_delay_alu instid0(VALU_DEP_4)
	v_add_co_u32 v96, s0, v48, v50
	s_wait_alu 0xf1ff
	v_add_co_ci_u32_e64 v97, s0, v49, v51, s0
	v_add_co_u32 v98, s0, v48, v68
	s_wait_alu 0xf1ff
	v_add_co_ci_u32_e64 v99, s0, v49, v69, s0
	s_clause 0xb
	global_load_b128 v[68:71], v[57:58], off
	global_load_b128 v[84:87], v[59:60], off
	;; [unrolled: 1-line block ×12, first 2 shown]
.LBB0_13:
	s_or_b32 exec_lo, exec_lo, s1
	v_add_f64_e32 v[96:97], v[6:7], v[26:27]
	s_wait_loadcnt 0xc
	v_add_f64_e32 v[98:99], v[30:31], v[46:47]
	s_wait_loadcnt 0x6
	;; [unrolled: 2-line block ×3, first 2 shown]
	v_add_f64_e32 v[102:103], v[74:75], v[54:55]
	v_add_f64_e32 v[104:105], v[4:5], v[24:25]
	;; [unrolled: 1-line block ×5, first 2 shown]
	v_add_f64_e64 v[24:25], v[24:25], -v[4:5]
	v_add_f64_e32 v[120:121], v[48:49], v[92:93]
	v_add_f64_e32 v[122:123], v[72:73], v[52:53]
	v_add_f64_e64 v[124:125], v[28:29], -v[44:45]
	v_add_f64_e64 v[128:129], v[92:93], -v[48:49]
	;; [unrolled: 1-line block ×4, first 2 shown]
	s_mov_b32 s6, 0xe8584caa
	s_mov_b32 s7, 0xbfebb67a
	;; [unrolled: 1-line block ×3, first 2 shown]
	s_wait_alu 0xfffe
	s_mov_b32 s2, s6
	v_add_f64_e32 v[106:107], v[20:21], v[0:1]
	v_add_f64_e32 v[108:109], v[22:23], v[2:3]
	;; [unrolled: 1-line block ×11, first 2 shown]
	v_add_f64_e64 v[176:177], v[82:83], -v[62:63]
	v_add_f64_e64 v[22:23], v[22:23], -v[10:11]
	;; [unrolled: 1-line block ×4, first 2 shown]
	v_add_f64_e32 v[42:43], v[38:39], v[42:43]
	v_add_f64_e32 v[143:144], v[88:89], v[68:69]
	;; [unrolled: 1-line block ×3, first 2 shown]
	v_add_f64_e64 v[90:91], v[90:91], -v[66:67]
	v_fma_f64 v[18:19], v[96:97], -0.5, v[18:19]
	v_fma_f64 v[98:99], v[98:99], -0.5, v[34:35]
	;; [unrolled: 1-line block ×5, first 2 shown]
	v_add_f64_e32 v[34:35], v[30:31], v[34:35]
	v_add_f64_e64 v[29:30], v[30:31], -v[46:47]
	v_fma_f64 v[31:32], v[112:113], -0.5, v[32:33]
	v_add_f64_e32 v[86:87], v[86:87], v[94:95]
	v_add_f64_e64 v[94:95], v[94:95], -v[50:51]
	v_fma_f64 v[84:85], v[120:121], -0.5, v[84:85]
	v_add_f64_e32 v[96:97], v[12:13], v[40:41]
	v_add_f64_e64 v[112:113], v[74:75], -v[54:55]
	v_fma_f64 v[120:121], v[122:123], -0.5, v[76:77]
	v_add_f64_e32 v[74:75], v[74:75], v[78:79]
	v_mul_i32_i24_e32 v78, 6, v151
	v_mul_i32_i24_e32 v79, 6, v150
	v_add_f64_e32 v[122:123], v[58:59], v[82:83]
	v_add_f64_e32 v[82:83], v[62:63], v[82:83]
	;; [unrolled: 1-line block ×3, first 2 shown]
	v_lshl_add_u32 v168, v78, 3, 0
	v_lshl_add_u32 v170, v79, 3, 0
	v_add_f64_e32 v[8:9], v[8:9], v[106:107]
	v_add_f64_e32 v[106:107], v[10:11], v[108:109]
	v_fma_f64 v[0:1], v[110:111], -0.5, v[0:1]
	v_add_f64_e32 v[108:109], v[6:7], v[118:119]
	v_add_f64_e64 v[40:41], v[40:41], -v[36:37]
	v_fma_f64 v[12:13], v[130:131], -0.5, v[12:13]
	v_fma_f64 v[2:3], v[114:115], -0.5, v[2:3]
	;; [unrolled: 1-line block ×3, first 2 shown]
	v_add_f64_e32 v[4:5], v[4:5], v[116:117]
	v_mul_i32_i24_e32 v33, 6, v164
	v_add_f64_e64 v[88:89], v[88:89], -v[64:65]
	v_add_f64_e32 v[52:53], v[52:53], v[72:73]
	v_fma_f64 v[14:15], v[42:43], -0.5, v[14:15]
	v_add_f64_e32 v[42:43], v[64:65], v[143:144]
	v_lshl_add_u32 v167, v33, 3, 0
	v_mul_u32_u24_e32 v28, 6, v157
	s_wait_alu 0xfffe
	v_fma_f64 v[174:175], v[24:25], s[2:3], v[18:19]
	v_fma_f64 v[18:19], v[24:25], s[6:7], v[18:19]
	;; [unrolled: 1-line block ×6, first 2 shown]
	v_add_f64_e32 v[24:25], v[60:61], v[80:81]
	v_fma_f64 v[76:77], v[132:133], s[2:3], v[102:103]
	v_fma_f64 v[102:103], v[132:133], s[6:7], v[102:103]
	;; [unrolled: 1-line block ×6, first 2 shown]
	v_add_f64_e32 v[36:37], v[36:37], v[96:97]
	v_fma_f64 v[96:97], v[112:113], s[6:7], v[120:121]
	v_fma_f64 v[29:30], v[29:30], s[2:3], v[31:32]
	;; [unrolled: 1-line block ×3, first 2 shown]
	v_add_f64_e64 v[80:81], v[80:81], -v[60:61]
	v_lshl_add_u32 v28, v28, 3, 0
	v_lshl_add_u32 v166, v169, 3, 0
	v_mad_i32_i24 v149, 0xffffffd8, v150, v170
	v_cmp_gt_u32_e64 s0, 0x48, v157
	s_delay_alu instid0(VALU_DEP_4) | instskip(SKIP_2) | instid1(VALU_DEP_3)
	v_mad_i32_i24 v165, 0xffffffd8, v157, v28
	v_fma_f64 v[72:73], v[22:23], s[2:3], v[0:1]
	v_fma_f64 v[128:129], v[20:21], s[6:7], v[2:3]
	v_add_nc_u32_e32 v140, 0x1e00, v165
	v_add_nc_u32_e32 v141, 0x1400, v165
	;; [unrolled: 1-line block ×3, first 2 shown]
	v_fma_f64 v[132:133], v[40:41], s[6:7], v[14:15]
	v_fma_f64 v[130:131], v[40:41], s[2:3], v[14:15]
	v_mul_f64_e32 v[26:27], s[6:7], v[174:175]
	v_mul_f64_e32 v[110:111], s[6:7], v[18:19]
	;; [unrolled: 1-line block ×6, first 2 shown]
	v_fma_f64 v[24:25], v[24:25], -0.5, v[56:57]
	v_fma_f64 v[56:57], v[112:113], s[2:3], v[120:121]
	v_mul_f64_e32 v[112:113], s[6:7], v[76:77]
	v_mul_f64_e32 v[118:119], s[6:7], v[102:103]
	v_add_f64_e32 v[120:121], v[38:39], v[126:127]
	v_add_f64_e32 v[38:39], v[44:45], v[138:139]
	;; [unrolled: 1-line block ×3, first 2 shown]
	v_fma_f64 v[33:34], v[172:173], -0.5, v[70:71]
	v_fma_f64 v[44:45], v[82:83], -0.5, v[58:59]
	v_add_f64_e32 v[82:83], v[50:51], v[86:87]
	v_mul_f64_e32 v[50:51], s[2:3], v[78:79]
	v_mul_f64_e32 v[18:19], -0.5, v[18:19]
	v_add_f64_e32 v[70:71], v[66:67], v[145:146]
	v_add_f64_e32 v[46:47], v[48:49], v[92:93]
	;; [unrolled: 1-line block ×5, first 2 shown]
	v_mul_f64_e32 v[54:55], s[2:3], v[10:11]
	v_mul_f64_e32 v[63:64], -0.5, v[98:99]
	v_fma_f64 v[65:66], v[22:23], s[6:7], v[0:1]
	v_mul_f64_e32 v[74:75], s[2:3], v[6:7]
	v_mul_f64_e32 v[86:87], -0.5, v[100:101]
	v_mul_f64_e32 v[92:93], s[2:3], v[96:97]
	v_mul_f64_e32 v[98:99], -0.5, v[102:103]
	v_fma_f64 v[100:101], v[134:135], s[6:7], v[12:13]
	v_fma_f64 v[102:103], v[134:135], s[2:3], v[12:13]
	v_add_f64_e32 v[0:1], v[4:5], v[8:9]
	v_add_nc_u32_e32 v173, 0x4200, v165
	v_mad_i32_i24 v172, 0xffffffd8, v164, v167
	v_fma_f64 v[26:27], v[78:79], 0.5, v[26:27]
	v_fma_f64 v[78:79], v[16:17], -0.5, v[110:111]
	v_fma_f64 v[104:105], v[10:11], 0.5, v[31:32]
	v_fma_f64 v[110:111], v[29:30], -0.5, v[114:115]
	v_fma_f64 v[114:115], v[90:91], s[6:7], v[68:69]
	v_fma_f64 v[67:68], v[90:91], s[2:3], v[68:69]
	v_fma_f64 v[90:91], v[6:7], 0.5, v[94:95]
	v_fma_f64 v[94:95], v[84:85], -0.5, v[116:117]
	v_fma_f64 v[116:117], v[176:177], s[6:7], v[24:25]
	v_fma_f64 v[96:97], v[96:97], 0.5, v[112:113]
	v_fma_f64 v[122:123], v[176:177], s[2:3], v[24:25]
	v_fma_f64 v[112:113], v[56:57], -0.5, v[118:119]
	v_fma_f64 v[118:119], v[20:21], s[2:3], v[2:3]
	v_fma_f64 v[134:135], v[88:89], s[2:3], v[33:34]
	v_fma_f64 v[138:139], v[88:89], s[6:7], v[33:34]
	v_add_f64_e64 v[6:7], v[8:9], -v[4:5]
	v_fma_f64 v[88:89], v[174:175], 0.5, v[50:51]
	v_fma_f64 v[147:148], v[16:17], s[2:3], v[18:19]
	v_fma_f64 v[143:144], v[80:81], s[2:3], v[44:45]
	v_add_f64_e32 v[8:9], v[36:37], v[38:39]
	v_add_f64_e64 v[14:15], v[36:37], -v[38:39]
	v_fma_f64 v[145:146], v[80:81], s[6:7], v[44:45]
	v_add_f64_e32 v[16:17], v[46:47], v[42:43]
	v_fma_f64 v[175:176], v[178:179], 0.5, v[54:55]
	v_fma_f64 v[177:178], v[29:30], s[2:3], v[63:64]
	v_add_f64_e64 v[22:23], v[42:43], -v[46:47]
	v_fma_f64 v[124:125], v[124:125], 0.5, v[74:75]
	v_fma_f64 v[179:180], v[84:85], s[2:3], v[86:87]
	v_fma_f64 v[181:182], v[76:77], 0.5, v[92:93]
	v_fma_f64 v[98:99], v[56:57], s[2:3], v[98:99]
	v_add_f64_e32 v[24:25], v[48:49], v[52:53]
	v_add_f64_e64 v[31:32], v[48:49], -v[52:53]
	v_add_f64_e32 v[49:50], v[108:109], v[106:107]
	v_add_f64_e64 v[55:56], v[106:107], -v[108:109]
	;; [unrolled: 2-line block ×3, first 2 shown]
	v_add_nc_u32_e32 v174, 0x5400, v165
	v_add_f64_e32 v[2:3], v[65:66], v[26:27]
	v_add_f64_e32 v[4:5], v[72:73], v[78:79]
	v_add_f64_e64 v[33:34], v[65:66], -v[26:27]
	v_add_f64_e64 v[35:36], v[72:73], -v[78:79]
	v_add_f64_e32 v[10:11], v[100:101], v[104:105]
	v_add_f64_e32 v[12:13], v[102:103], v[110:111]
	v_add_f64_e64 v[37:38], v[100:101], -v[104:105]
	v_add_f64_e64 v[39:40], v[102:103], -v[110:111]
	;; [unrolled: 4-line block ×4, first 2 shown]
	v_add_f64_e32 v[65:66], v[82:83], v[70:71]
	v_add_f64_e64 v[71:72], v[70:71], -v[82:83]
	v_add_f64_e32 v[51:52], v[118:119], v[88:89]
	v_add_f64_e64 v[81:82], v[118:119], -v[88:89]
	v_add_f64_e64 v[83:84], v[128:129], -v[147:148]
	v_add_f64_e32 v[53:54], v[128:129], v[147:148]
	v_and_b32_e32 v147, 0xffff, v164
	v_add_f64_e32 v[73:74], v[59:60], v[61:62]
	v_add_f64_e64 v[79:80], v[59:60], -v[61:62]
	v_add_f64_e32 v[61:62], v[132:133], v[177:178]
	v_add_f64_e64 v[87:88], v[132:133], -v[177:178]
	v_and_b32_e32 v177, 0xffff, v151
	v_add_f64_e32 v[59:60], v[130:131], v[175:176]
	v_add_f64_e64 v[85:86], v[130:131], -v[175:176]
	v_add_f64_e32 v[67:68], v[134:135], v[124:125]
	v_add_f64_e64 v[89:90], v[134:135], -v[124:125]
	v_add_f64_e64 v[91:92], v[138:139], -v[179:180]
	v_add_f64_e32 v[69:70], v[138:139], v[179:180]
	v_add_f64_e32 v[75:76], v[143:144], v[181:182]
	;; [unrolled: 1-line block ×3, first 2 shown]
	v_add_f64_e64 v[116:117], v[143:144], -v[181:182]
	v_add_f64_e64 v[118:119], v[145:146], -v[98:99]
	ds_store_b128 v28, v[0:3]
	ds_store_b128 v28, v[4:7] offset:16
	ds_store_b128 v28, v[33:36] offset:32
	ds_store_b128 v167, v[8:11]
	ds_store_b128 v167, v[12:15] offset:16
	ds_store_b128 v167, v[37:40] offset:32
	;; [unrolled: 3-line block ×4, first 2 shown]
	v_mul_u32_u24_e32 v29, 0xaaab, v147
	v_add_nc_u32_e32 v175, 0x2800, v165
	v_add_nc_u32_e32 v143, 0x3800, v165
	v_mad_i32_i24 v148, 0xffffffd8, v151, v168
	v_add_nc_u32_e32 v176, 0x4c00, v165
	v_lshrrev_b32_e32 v182, 18, v29
	v_mul_u32_u24_e32 v29, 0xaaab, v177
	v_add_nc_u32_e32 v144, 0x5c00, v165
	global_wb scope:SCOPE_SE
	s_wait_dscnt 0x0
	s_barrier_signal -1
	v_mul_lo_u16 v30, v182, 6
	v_lshrrev_b32_e32 v180, 18, v29
	s_barrier_wait -1
	global_inv scope:SCOPE_SE
	ds_load_b64 v[104:105], v165
	ds_load_2addr_b64 v[20:23], v140 offset0:48 offset1:192
	ds_load_2addr_b64 v[4:7], v142 offset0:48 offset1:192
	;; [unrolled: 1-line block ×8, first 2 shown]
	ds_load_b64 v[108:109], v148
	ds_load_b64 v[106:107], v149
	;; [unrolled: 1-line block ×4, first 2 shown]
	ds_load_b64 v[112:113], v165 offset:26496
	ds_load_2addr_b64 v[24:27], v144 offset0:80 offset1:224
	global_wb scope:SCOPE_SE
	s_wait_dscnt 0x0
	s_barrier_signal -1
	s_barrier_wait -1
	global_inv scope:SCOPE_SE
	ds_store_b128 v28, v[49:52]
	ds_store_b128 v28, v[53:56] offset:16
	ds_store_b128 v28, v[81:84] offset:32
	v_mul_lo_u16 v28, v180, 6
	v_sub_nc_u16 v29, v164, v30
	ds_store_b128 v167, v[57:60]
	ds_store_b128 v167, v[61:64] offset:16
	ds_store_b128 v167, v[85:88] offset:32
	ds_store_b128 v168, v[65:68]
	ds_store_b128 v168, v[69:72] offset:16
	v_sub_nc_u16 v28, v151, v28
	v_and_b32_e32 v179, 0xffff, v29
	ds_store_b128 v168, v[89:92] offset:32
	ds_store_b128 v170, v[73:76]
	ds_store_b128 v170, v[77:80] offset:16
	ds_store_b128 v170, v[116:119] offset:32
	global_wb scope:SCOPE_SE
	s_wait_dscnt 0x0
	s_barrier_signal -1
	v_and_b32_e32 v181, 0xffff, v28
	v_mul_u32_u24_e32 v29, 5, v179
	s_barrier_wait -1
	global_inv scope:SCOPE_SE
	v_and_b32_e32 v146, 0xff, v157
	v_mul_u32_u24_e32 v28, 5, v181
	v_lshlrev_b32_e32 v29, 4, v29
	v_and_b32_e32 v145, 0xffff, v150
	s_delay_alu instid0(VALU_DEP_4) | instskip(NEXT) | instid1(VALU_DEP_4)
	v_mul_lo_u16 v30, 0xab, v146
	v_lshlrev_b32_e32 v28, 4, v28
	s_clause 0x5
	global_load_b128 v[118:121], v29, s[4:5]
	global_load_b128 v[122:125], v28, s[4:5]
	global_load_b128 v[187:190], v29, s[4:5] offset:32
	global_load_b128 v[191:194], v28, s[4:5] offset:32
	;; [unrolled: 1-line block ×4, first 2 shown]
	v_mul_u32_u24_e32 v31, 0xaaab, v145
	v_lshrrev_b16 v185, 10, v30
	s_delay_alu instid0(VALU_DEP_2) | instskip(NEXT) | instid1(VALU_DEP_2)
	v_lshrrev_b32_e32 v184, 18, v31
	v_mul_lo_u16 v30, v185, 6
	s_delay_alu instid0(VALU_DEP_2) | instskip(NEXT) | instid1(VALU_DEP_2)
	v_mul_lo_u16 v31, v184, 6
	v_sub_nc_u16 v30, v157, v30
	v_mul_u32_u24_e32 v184, 0x120, v184
	s_delay_alu instid0(VALU_DEP_3) | instskip(NEXT) | instid1(VALU_DEP_3)
	v_sub_nc_u16 v31, v150, v31
	v_and_b32_e32 v186, 0xff, v30
	s_delay_alu instid0(VALU_DEP_2) | instskip(NEXT) | instid1(VALU_DEP_2)
	v_and_b32_e32 v183, 0xffff, v31
	v_mul_u32_u24_e32 v30, 5, v186
	s_delay_alu instid0(VALU_DEP_2) | instskip(NEXT) | instid1(VALU_DEP_2)
	v_mul_u32_u24_e32 v31, 5, v183
	v_lshlrev_b32_e32 v30, 4, v30
	s_delay_alu instid0(VALU_DEP_2)
	v_lshlrev_b32_e32 v44, 4, v31
	s_clause 0xd
	global_load_b128 v[64:67], v30, s[4:5] offset:16
	global_load_b128 v[56:59], v44, s[4:5]
	global_load_b128 v[68:71], v30, s[4:5]
	global_load_b128 v[88:91], v44, s[4:5] offset:64
	global_load_b128 v[84:87], v30, s[4:5] offset:32
	;; [unrolled: 1-line block ×11, first 2 shown]
	ds_load_2addr_b64 v[126:129], v141 offset0:80 offset1:224
	ds_load_2addr_b64 v[195:198], v143 offset0:80 offset1:224
	;; [unrolled: 1-line block ×3, first 2 shown]
	s_wait_loadcnt_dscnt 0x1302
	v_mul_f64_e32 v[116:117], v[126:127], v[120:121]
	v_mul_f64_e32 v[120:121], v[96:97], v[120:121]
	s_wait_loadcnt 0x12
	v_mul_f64_e32 v[130:131], v[128:129], v[124:125]
	v_mul_f64_e32 v[124:125], v[98:99], v[124:125]
	s_wait_loadcnt_dscnt 0x1101
	v_mul_f64_e32 v[134:135], v[195:196], v[189:190]
	v_mul_f64_e32 v[138:139], v[100:101], v[189:190]
	s_wait_loadcnt 0x10
	v_mul_f64_e32 v[189:190], v[197:198], v[193:194]
	v_mul_f64_e32 v[193:194], v[102:103], v[193:194]
	s_wait_loadcnt 0xe
	v_mul_f64_e32 v[132:133], v[24:25], v[74:75]
	v_fma_f64 v[116:117], v[96:97], v[118:119], v[116:117]
	v_fma_f64 v[120:121], v[126:127], v[118:119], -v[120:121]
	v_mul_f64_e32 v[126:127], v[26:27], v[62:63]
	v_fma_f64 v[118:119], v[98:99], v[122:123], v[130:131]
	v_fma_f64 v[122:123], v[128:129], v[122:123], -v[124:125]
	s_wait_dscnt 0x0
	v_mul_f64_e32 v[130:131], v[92:93], v[74:75]
	v_mul_f64_e32 v[128:129], v[94:95], v[62:63]
	ds_load_2addr_b64 v[96:99], v140 offset0:48 offset1:192
	ds_load_b64 v[124:125], v166
	v_fma_f64 v[74:75], v[100:101], v[187:188], v[134:135]
	v_fma_f64 v[62:63], v[195:196], v[187:188], -v[138:139]
	v_fma_f64 v[100:101], v[102:103], v[191:192], v[189:190]
	s_wait_loadcnt 0xd
	v_mul_f64_e32 v[138:139], v[22:23], v[66:67]
	ds_load_b64 v[187:188], v172
	ds_load_b64 v[189:190], v165 offset:26496
	v_fma_f64 v[132:133], v[92:93], v[72:73], -v[132:133]
	s_wait_loadcnt 0xb
	v_mul_f64_e32 v[92:93], v[114:115], v[70:71]
	s_wait_loadcnt 0x8
	v_mul_f64_e32 v[195:196], v[2:3], v[78:79]
	s_wait_dscnt 0x3
	v_mul_f64_e32 v[134:135], v[98:99], v[66:67]
	v_mul_f64_e32 v[102:103], v[96:97], v[58:59]
	v_fma_f64 v[66:67], v[197:198], v[191:192], -v[193:194]
	v_mul_f64_e32 v[58:59], v[20:21], v[58:59]
	s_wait_dscnt 0x2
	v_mul_f64_e32 v[191:192], v[124:125], v[70:71]
	v_mul_f64_e32 v[193:194], v[112:113], v[90:91]
	s_wait_dscnt 0x0
	v_mul_f64_e32 v[197:198], v[189:190], v[90:91]
	v_fma_f64 v[130:131], v[24:25], v[72:73], v[130:131]
	v_fma_f64 v[128:129], v[26:27], v[60:61], v[128:129]
	ds_load_2addr_b64 v[24:27], v142 offset0:48 offset1:192
	v_fma_f64 v[60:61], v[94:95], v[60:61], -v[126:127]
	v_mul_f64_e32 v[126:127], v[6:7], v[86:87]
	ds_load_2addr_b64 v[70:73], v173 offset0:48 offset1:192
	ds_load_b64 v[94:95], v165
	s_wait_dscnt 0x2
	v_mul_f64_e32 v[86:87], v[26:27], v[86:87]
	v_fma_f64 v[134:135], v[22:23], v[64:65], v[134:135]
	v_fma_f64 v[64:65], v[98:99], v[64:65], -v[138:139]
	v_fma_f64 v[98:99], v[20:21], v[56:57], v[102:103]
	s_wait_loadcnt 0x7
	v_mul_f64_e32 v[102:103], v[8:9], v[82:83]
	v_fma_f64 v[96:97], v[96:97], v[56:57], -v[58:59]
	ds_load_2addr_b64 v[20:23], v175 offset0:16 offset1:160
	ds_load_2addr_b64 v[56:59], v174 offset0:48 offset1:192
	v_fma_f64 v[114:115], v[114:115], v[68:69], v[191:192]
	v_fma_f64 v[68:69], v[124:125], v[68:69], -v[92:93]
	ds_load_2addr_b64 v[90:93], v176 offset0:16 offset1:160
	s_wait_dscnt 0x4
	v_mul_f64_e32 v[82:83], v[70:71], v[82:83]
	v_fma_f64 v[138:139], v[189:190], v[88:89], -v[193:194]
	v_fma_f64 v[88:89], v[112:113], v[88:89], v[197:198]
	v_fma_f64 v[26:27], v[26:27], v[84:85], -v[126:127]
	s_wait_loadcnt 0x4
	v_mul_f64_e32 v[126:127], v[72:73], v[50:51]
	v_mul_f64_e32 v[50:51], v[10:11], v[50:51]
	s_wait_dscnt 0x2
	v_mul_f64_e32 v[112:113], v[22:23], v[42:43]
	s_wait_dscnt 0x1
	v_mul_f64_e32 v[78:79], v[58:59], v[78:79]
	v_fma_f64 v[58:59], v[58:59], v[76:77], -v[195:196]
	v_mul_f64_e32 v[124:125], v[20:21], v[54:55]
	s_wait_loadcnt_dscnt 0x300
	v_mul_f64_e32 v[189:190], v[90:91], v[34:35]
	v_mul_f64_e32 v[54:55], v[12:13], v[54:55]
	;; [unrolled: 1-line block ×3, first 2 shown]
	v_fma_f64 v[6:7], v[6:7], v[84:85], v[86:87]
	s_wait_loadcnt 0x2
	v_mul_f64_e32 v[84:85], v[92:93], v[30:31]
	s_wait_loadcnt 0x1
	v_mul_f64_e32 v[86:87], v[24:25], v[38:39]
	v_fma_f64 v[70:71], v[70:71], v[80:81], -v[102:103]
	v_mul_u32_u24_e32 v102, 0xe38f, v147
	v_mul_u32_u24_e32 v103, 0xe38f, v177
	s_delay_alu instid0(VALU_DEP_2) | instskip(NEXT) | instid1(VALU_DEP_2)
	v_lshrrev_b32_e32 v177, 21, v102
	v_lshrrev_b32_e32 v178, 21, v103
	v_and_b32_e32 v102, 0xffff, v185
	v_fma_f64 v[8:9], v[8:9], v[80:81], v[82:83]
	s_wait_loadcnt 0x0
	v_mul_f64_e32 v[80:81], v[56:57], v[46:47]
	v_mul_lo_u16 v147, v177, 36
	v_mul_lo_u16 v82, v178, 36
	v_mul_u32_u24_e32 v83, 0x120, v102
	v_lshlrev_b32_e32 v102, 3, v186
	v_mul_u32_u24_e32 v103, 0x120, v182
	v_sub_nc_u16 v147, v164, v147
	v_fma_f64 v[10:11], v[10:11], v[48:49], v[126:127]
	v_fma_f64 v[48:49], v[72:73], v[48:49], -v[50:51]
	v_add3_u32 v191, 0, v83, v102
	v_sub_nc_u16 v102, v151, v82
	v_add_f64_e32 v[82:83], v[66:67], v[60:61]
	v_fma_f64 v[2:3], v[2:3], v[76:77], v[78:79]
	v_add_f64_e32 v[76:77], v[26:27], v[58:59]
	v_fma_f64 v[78:79], v[14:15], v[40:41], v[112:113]
	v_mul_f64_e32 v[14:15], v[14:15], v[42:43]
	v_add_f64_e32 v[42:43], v[62:63], v[132:133]
	v_fma_f64 v[12:13], v[12:13], v[52:53], v[124:125]
	v_fma_f64 v[16:17], v[16:17], v[32:33], v[189:190]
	v_fma_f64 v[20:21], v[20:21], v[52:53], -v[54:55]
	v_add_f64_e32 v[50:51], v[74:75], v[130:131]
	v_add_f64_e64 v[72:73], v[74:75], -v[130:131]
	v_fma_f64 v[32:33], v[90:91], v[32:33], -v[34:35]
	v_mul_u32_u24_e32 v182, 0x120, v180
	v_and_b32_e32 v180, 0xffff, v102
	v_fma_f64 v[84:85], v[18:19], v[28:29], v[84:85]
	v_mul_f64_e32 v[18:19], v[18:19], v[30:31]
	v_fma_f64 v[86:87], v[4:5], v[36:37], v[86:87]
	v_add_f64_e32 v[30:31], v[70:71], v[138:139]
	v_mul_f64_e32 v[4:5], v[4:5], v[38:39]
	v_mul_f64_e32 v[38:39], v[0:1], v[46:47]
	v_lshlrev_b32_e32 v46, 3, v179
	v_and_b32_e32 v179, 0xffff, v147
	v_lshlrev_b32_e32 v47, 3, v181
	v_lshlrev_b32_e32 v102, 3, v183
	v_add_f64_e32 v[112:113], v[120:121], v[62:63]
	v_add3_u32 v147, 0, v103, v46
	v_add_f64_e32 v[34:35], v[8:9], v[88:89]
	v_fma_f64 v[0:1], v[0:1], v[44:45], v[80:81]
	v_add_f64_e64 v[90:91], v[8:9], -v[88:89]
	v_mul_u32_u24_e32 v46, 5, v179
	v_add3_u32 v189, 0, v182, v47
	v_mul_u32_u24_e32 v47, 5, v180
	v_add_f64_e64 v[62:63], v[62:63], -v[132:133]
	v_add_f64_e32 v[8:9], v[98:99], v[8:9]
	v_lshlrev_b32_e32 v197, 4, v46
	v_add3_u32 v190, 0, v184, v102
	v_lshlrev_b32_e32 v198, 4, v47
	ds_load_b64 v[46:47], v148
	ds_load_b64 v[80:81], v149
	v_fma_f64 v[82:83], v[82:83], -0.5, v[122:123]
	v_add_f64_e32 v[52:53], v[6:7], v[2:3]
	v_add_f64_e64 v[54:55], v[6:7], -v[2:3]
	v_fma_f64 v[76:77], v[76:77], -0.5, v[68:69]
	v_fma_f64 v[14:15], v[22:23], v[40:41], -v[14:15]
	v_fma_f64 v[42:43], v[42:43], -0.5, v[120:121]
	v_add_f64_e32 v[22:23], v[100:101], v[128:129]
	v_add_f64_e64 v[40:41], v[100:101], -v[128:129]
	v_add_f64_e32 v[6:7], v[114:115], v[6:7]
	v_add_f64_e32 v[68:69], v[68:69], v[26:27]
	v_add_f64_e64 v[26:27], v[26:27], -v[58:59]
	v_add_f64_e32 v[120:121], v[122:123], v[66:67]
	v_add_f64_e64 v[66:67], v[66:67], -v[60:61]
	v_fma_f64 v[50:51], v[50:51], -0.5, v[116:117]
	v_add_f64_e64 v[102:103], v[134:135], -v[10:11]
	v_fma_f64 v[18:19], v[92:93], v[28:29], -v[18:19]
	v_add_f64_e32 v[28:29], v[134:135], v[10:11]
	v_fma_f64 v[30:31], v[30:31], -0.5, v[96:97]
	v_fma_f64 v[4:5], v[24:25], v[36:37], -v[4:5]
	v_fma_f64 v[24:25], v[56:57], v[44:45], -v[38:39]
	v_add_f64_e32 v[36:37], v[104:105], v[134:135]
	v_add_f64_e32 v[38:39], v[116:117], v[74:75]
	v_add_f64_e32 v[44:45], v[12:13], v[16:17]
	v_add_f64_e32 v[56:57], v[110:111], v[12:13]
	v_add_f64_e32 v[74:75], v[118:119], v[100:101]
	v_add_f64_e32 v[92:93], v[78:79], v[84:85]
	v_add_f64_e32 v[100:101], v[108:109], v[78:79]
	v_add_f64_e32 v[122:123], v[86:87], v[0:1]
	v_add_f64_e32 v[124:125], v[106:107], v[86:87]
	v_fma_f64 v[34:35], v[34:35], -0.5, v[98:99]
	v_add_f64_e32 v[126:127], v[94:95], v[64:65]
	v_add_f64_e64 v[12:13], v[12:13], -v[16:17]
	v_add_f64_e64 v[78:79], v[78:79], -v[84:85]
	v_add_f64_e32 v[181:182], v[187:188], v[20:21]
	v_add_f64_e64 v[86:87], v[86:87], -v[0:1]
	v_add_f64_e32 v[8:9], v[8:9], v[88:89]
	v_add_f64_e32 v[88:89], v[112:113], v[132:133]
	global_wb scope:SCOPE_SE
	s_wait_dscnt 0x0
	s_barrier_signal -1
	v_fma_f64 v[52:53], v[52:53], -0.5, v[114:115]
	s_barrier_wait -1
	v_fma_f64 v[114:115], v[54:55], s[2:3], v[76:77]
	v_fma_f64 v[54:55], v[54:55], s[6:7], v[76:77]
	v_add_f64_e32 v[76:77], v[64:65], v[48:49]
	v_fma_f64 v[116:117], v[72:73], s[2:3], v[42:43]
	v_fma_f64 v[42:43], v[72:73], s[6:7], v[42:43]
	v_fma_f64 v[22:23], v[22:23], -0.5, v[118:119]
	v_add_f64_e64 v[72:73], v[70:71], -v[138:139]
	v_fma_f64 v[118:119], v[40:41], s[2:3], v[82:83]
	v_add_f64_e32 v[70:71], v[96:97], v[70:71]
	v_fma_f64 v[40:41], v[40:41], s[6:7], v[82:83]
	v_add_f64_e64 v[64:65], v[64:65], -v[48:49]
	v_add_f64_e32 v[2:3], v[6:7], v[2:3]
	v_add_f64_e32 v[98:99], v[14:15], v[18:19]
	v_add_f64_e64 v[96:97], v[14:15], -v[18:19]
	v_add_f64_e32 v[14:15], v[46:47], v[14:15]
	v_fma_f64 v[82:83], v[90:91], s[2:3], v[30:31]
	v_fma_f64 v[30:31], v[90:91], s[6:7], v[30:31]
	v_add_f64_e32 v[90:91], v[20:21], v[32:33]
	v_add_f64_e32 v[134:135], v[4:5], v[24:25]
	v_add_f64_e64 v[183:184], v[4:5], -v[24:25]
	v_add_f64_e32 v[4:5], v[80:81], v[4:5]
	v_fma_f64 v[6:7], v[28:29], -0.5, v[104:105]
	v_add_f64_e64 v[20:21], v[20:21], -v[32:33]
	v_add_f64_e32 v[10:11], v[36:37], v[10:11]
	v_add_f64_e32 v[28:29], v[38:39], v[130:131]
	v_fma_f64 v[36:37], v[44:45], -0.5, v[110:111]
	v_add_f64_e32 v[16:17], v[56:57], v[16:17]
	v_add_f64_e32 v[38:39], v[74:75], v[128:129]
	v_fma_f64 v[44:45], v[92:93], -0.5, v[108:109]
	v_add_f64_e32 v[56:57], v[100:101], v[84:85]
	v_fma_f64 v[74:75], v[122:123], -0.5, v[106:107]
	v_fma_f64 v[100:101], v[62:63], s[6:7], v[50:51]
	v_fma_f64 v[50:51], v[62:63], s[2:3], v[50:51]
	v_add_f64_e32 v[0:1], v[124:125], v[0:1]
	v_add_f64_e32 v[58:59], v[68:69], v[58:59]
	;; [unrolled: 1-line block ×3, first 2 shown]
	v_fma_f64 v[84:85], v[26:27], s[6:7], v[52:53]
	v_fma_f64 v[26:27], v[26:27], s[2:3], v[52:53]
	v_mul_f64_e32 v[52:53], s[6:7], v[114:115]
	v_mul_f64_e32 v[92:93], s[6:7], v[54:55]
	v_fma_f64 v[76:77], v[76:77], -0.5, v[94:95]
	v_mul_f64_e32 v[62:63], s[6:7], v[116:117]
	v_mul_f64_e32 v[104:105], s[6:7], v[42:43]
	v_fma_f64 v[106:107], v[66:67], s[6:7], v[22:23]
	v_fma_f64 v[22:23], v[66:67], s[2:3], v[22:23]
	v_mul_f64_e32 v[66:67], s[6:7], v[118:119]
	v_mul_f64_e32 v[54:55], -0.5, v[54:55]
	v_mul_f64_e32 v[42:43], -0.5, v[42:43]
	v_mul_f64_e32 v[108:109], s[6:7], v[40:41]
	v_mul_f64_e32 v[40:41], -0.5, v[40:41]
	v_fma_f64 v[46:47], v[98:99], -0.5, v[46:47]
	v_fma_f64 v[110:111], v[72:73], s[6:7], v[34:35]
	v_add_f64_e32 v[14:15], v[14:15], v[18:19]
	v_add_f64_e32 v[18:19], v[120:121], v[60:61]
	v_mul_f64_e32 v[60:61], 0.5, v[114:115]
	v_fma_f64 v[68:69], v[90:91], -0.5, v[187:188]
	v_fma_f64 v[34:35], v[72:73], s[2:3], v[34:35]
	v_mul_f64_e32 v[72:73], s[6:7], v[82:83]
	v_add_f64_e32 v[4:5], v[4:5], v[24:25]
	v_add_f64_e32 v[24:25], v[70:71], v[138:139]
	v_mul_f64_e32 v[70:71], 0.5, v[116:117]
	v_fma_f64 v[90:91], v[64:65], s[6:7], v[6:7]
	v_fma_f64 v[6:7], v[64:65], s[2:3], v[6:7]
	v_mul_f64_e32 v[64:65], 0.5, v[118:119]
	v_fma_f64 v[80:81], v[134:135], -0.5, v[80:81]
	v_mul_f64_e32 v[82:83], 0.5, v[82:83]
	v_mul_f64_e32 v[122:123], s[6:7], v[30:31]
	v_mul_f64_e32 v[30:31], -0.5, v[30:31]
	v_fma_f64 v[94:95], v[20:21], s[6:7], v[36:37]
	v_fma_f64 v[20:21], v[20:21], s[2:3], v[36:37]
	;; [unrolled: 1-line block ×3, first 2 shown]
	v_add_f64_e32 v[112:113], v[10:11], v[2:3]
	v_add_f64_e64 v[2:3], v[10:11], -v[2:3]
	v_add_f64_e32 v[10:11], v[16:17], v[28:29]
	v_add_f64_e64 v[16:17], v[16:17], -v[28:29]
	v_add_f64_e32 v[28:29], v[56:57], v[38:39]
	v_fma_f64 v[52:53], v[84:85], 0.5, v[52:53]
	v_fma_f64 v[92:93], v[26:27], -0.5, v[92:93]
	v_add_f64_e64 v[38:39], v[56:57], -v[38:39]
	v_fma_f64 v[36:37], v[100:101], 0.5, v[62:63]
	v_fma_f64 v[62:63], v[50:51], -0.5, v[104:105]
	v_add_f64_e32 v[56:57], v[0:1], v[8:9]
	v_add_f64_e64 v[0:1], v[0:1], -v[8:9]
	v_fma_f64 v[66:67], v[106:107], 0.5, v[66:67]
	v_fma_f64 v[8:9], v[102:103], s[2:3], v[76:77]
	v_fma_f64 v[76:77], v[102:103], s[6:7], v[76:77]
	;; [unrolled: 1-line block ×3, first 2 shown]
	v_add_f64_e32 v[32:33], v[181:182], v[32:33]
	v_fma_f64 v[42:43], v[50:51], s[2:3], v[42:43]
	v_fma_f64 v[54:55], v[78:79], s[2:3], v[46:47]
	;; [unrolled: 1-line block ×3, first 2 shown]
	v_fma_f64 v[96:97], v[22:23], -0.5, v[108:109]
	v_fma_f64 v[60:61], v[84:85], s[2:3], v[60:61]
	v_fma_f64 v[102:103], v[12:13], s[2:3], v[68:69]
	;; [unrolled: 1-line block ×7, first 2 shown]
	v_fma_f64 v[72:73], v[110:111], 0.5, v[72:73]
	v_fma_f64 v[74:75], v[183:184], s[2:3], v[74:75]
	v_fma_f64 v[64:65], v[106:107], s[2:3], v[64:65]
	;; [unrolled: 1-line block ×4, first 2 shown]
	v_fma_f64 v[108:109], v[34:35], -0.5, v[122:123]
	v_fma_f64 v[50:51], v[86:87], s[6:7], v[80:81]
	v_fma_f64 v[30:31], v[34:35], s[2:3], v[30:31]
	global_inv scope:SCOPE_SE
	v_add_f64_e32 v[34:35], v[90:91], v[52:53]
	v_add_f64_e32 v[78:79], v[6:7], v[92:93]
	v_add_f64_e64 v[6:7], v[6:7], -v[92:93]
	v_add_f64_e32 v[92:93], v[48:49], v[58:59]
	v_add_f64_e32 v[82:83], v[20:21], v[62:63]
	v_add_f64_e64 v[20:21], v[20:21], -v[62:63]
	v_add_f64_e64 v[48:49], v[48:49], -v[58:59]
	v_add_f64_e32 v[62:63], v[98:99], v[66:67]
	v_add_f64_e64 v[66:67], v[98:99], -v[66:67]
	v_add_f64_e64 v[52:53], v[90:91], -v[52:53]
	v_add_f64_e32 v[100:101], v[76:77], v[26:27]
	v_add_f64_e64 v[26:27], v[76:77], -v[26:27]
	v_add_f64_e32 v[80:81], v[94:95], v[36:37]
	v_add_f64_e32 v[58:59], v[32:33], v[88:89]
	v_add_f64_e64 v[32:33], v[32:33], -v[88:89]
	v_add_f64_e64 v[36:37], v[94:95], -v[36:37]
	v_add_f64_e32 v[98:99], v[8:9], v[60:61]
	v_add_f64_e64 v[114:115], v[8:9], -v[60:61]
	v_add_f64_e32 v[116:117], v[12:13], v[42:43]
	;; [unrolled: 2-line block ×3, first 2 shown]
	v_add_f64_e32 v[84:85], v[44:45], v[96:97]
	v_add_f64_e32 v[76:77], v[102:103], v[68:69]
	v_add_f64_e64 v[102:103], v[102:103], -v[68:69]
	v_add_f64_e64 v[94:95], v[14:15], -v[18:19]
	v_add_f64_e32 v[120:121], v[54:55], v[64:65]
	v_add_f64_e32 v[122:123], v[46:47], v[22:23]
	v_add_f64_e64 v[44:45], v[44:45], -v[96:97]
	v_add_f64_e64 v[54:55], v[54:55], -v[64:65]
	;; [unrolled: 1-line block ×3, first 2 shown]
	v_add_f64_e32 v[86:87], v[104:105], v[72:73]
	v_add_f64_e32 v[96:97], v[4:5], v[24:25]
	;; [unrolled: 1-line block ×4, first 2 shown]
	v_add_f64_e64 v[24:25], v[4:5], -v[24:25]
	v_add_f64_e32 v[124:125], v[50:51], v[30:31]
	v_add_f64_e64 v[72:73], v[104:105], -v[72:73]
	v_add_f64_e64 v[74:75], v[74:75], -v[108:109]
	;; [unrolled: 1-line block ×4, first 2 shown]
	ds_store_2addr_b64 v191, v[112:113], v[34:35] offset1:6
	ds_store_2addr_b64 v191, v[78:79], v[2:3] offset0:12 offset1:18
	ds_store_2addr_b64 v191, v[52:53], v[6:7] offset0:24 offset1:30
	ds_store_2addr_b64 v147, v[10:11], v[80:81] offset1:6
	ds_store_2addr_b64 v147, v[82:83], v[16:17] offset0:12 offset1:18
	ds_store_2addr_b64 v147, v[36:37], v[20:21] offset0:24 offset1:30
	;; [unrolled: 3-line block ×4, first 2 shown]
	global_wb scope:SCOPE_SE
	s_wait_dscnt 0x0
	s_barrier_signal -1
	s_barrier_wait -1
	global_inv scope:SCOPE_SE
	ds_load_b64 v[108:109], v165
	ds_load_b64 v[106:107], v148
	;; [unrolled: 1-line block ×5, first 2 shown]
	ds_load_b64 v[112:113], v165 offset:26496
	ds_load_2addr_b64 v[60:63], v140 offset0:48 offset1:192
	ds_load_2addr_b64 v[4:7], v142 offset0:48 offset1:192
	;; [unrolled: 1-line block ×9, first 2 shown]
	global_wb scope:SCOPE_SE
	s_wait_dscnt 0x0
	s_barrier_signal -1
	s_barrier_wait -1
	global_inv scope:SCOPE_SE
	ds_store_2addr_b64 v191, v[92:93], v[98:99] offset1:6
	ds_store_2addr_b64 v191, v[100:101], v[48:49] offset0:12 offset1:18
	ds_store_2addr_b64 v191, v[114:115], v[26:27] offset0:24 offset1:30
	ds_store_2addr_b64 v147, v[58:59], v[76:77] offset1:6
	ds_store_2addr_b64 v147, v[116:117], v[32:33] offset0:12 offset1:18
	ds_store_2addr_b64 v147, v[102:103], v[42:43] offset0:24 offset1:30
	;; [unrolled: 3-line block ×4, first 2 shown]
	global_wb scope:SCOPE_SE
	s_wait_dscnt 0x0
	s_barrier_signal -1
	s_barrier_wait -1
	global_inv scope:SCOPE_SE
	s_clause 0x1
	global_load_b128 v[120:123], v197, s[4:5] offset:480
	global_load_b128 v[126:129], v198, s[4:5] offset:480
	v_mul_lo_u16 v20, v146, 57
	s_clause 0x3
	global_load_b128 v[189:192], v197, s[4:5] offset:512
	global_load_b128 v[193:196], v198, s[4:5] offset:512
	;; [unrolled: 1-line block ×4, first 2 shown]
	v_lshrrev_b16 v182, 11, v20
	v_mul_u32_u24_e32 v21, 0xe38f, v145
	s_delay_alu instid0(VALU_DEP_2) | instskip(NEXT) | instid1(VALU_DEP_2)
	v_mul_lo_u16 v20, v182, 36
	v_lshrrev_b32_e32 v183, 21, v21
	s_delay_alu instid0(VALU_DEP_2) | instskip(NEXT) | instid1(VALU_DEP_1)
	v_sub_nc_u16 v20, v157, v20
	v_and_b32_e32 v181, 0xff, v20
	s_delay_alu instid0(VALU_DEP_3) | instskip(NEXT) | instid1(VALU_DEP_2)
	v_mul_lo_u16 v20, v183, 36
	v_mul_u32_u24_e32 v21, 5, v181
	s_delay_alu instid0(VALU_DEP_2) | instskip(NEXT) | instid1(VALU_DEP_2)
	v_sub_nc_u16 v20, v150, v20
	v_lshlrev_b32_e32 v21, 4, v21
	s_delay_alu instid0(VALU_DEP_2) | instskip(SKIP_2) | instid1(VALU_DEP_1)
	v_and_b32_e32 v184, 0xffff, v20
	global_load_b128 v[88:91], v21, s[4:5] offset:496
	v_mul_u32_u24_e32 v20, 5, v184
	v_lshlrev_b32_e32 v32, 4, v20
	s_clause 0xc
	global_load_b128 v[92:95], v32, s[4:5] offset:480
	global_load_b128 v[80:83], v21, s[4:5] offset:512
	;; [unrolled: 1-line block ×13, first 2 shown]
	ds_load_2addr_b64 v[132:135], v141 offset0:80 offset1:224
	ds_load_2addr_b64 v[197:200], v143 offset0:80 offset1:224
	;; [unrolled: 1-line block ×4, first 2 shown]
	s_wait_loadcnt 0x13
	v_mul_f64_e32 v[116:117], v[68:69], v[122:123]
	s_wait_dscnt 0x3
	v_mul_f64_e32 v[114:115], v[132:133], v[122:123]
	s_wait_loadcnt 0x12
	v_mul_f64_e32 v[122:123], v[134:135], v[128:129]
	v_mul_f64_e32 v[138:139], v[70:71], v[128:129]
	s_wait_loadcnt_dscnt 0x1102
	v_mul_f64_e32 v[143:144], v[197:198], v[191:192]
	v_mul_f64_e32 v[145:146], v[185:186], v[191:192]
	s_wait_loadcnt 0x10
	v_mul_f64_e32 v[191:192], v[199:200], v[195:196]
	v_mul_f64_e32 v[195:196], v[187:188], v[195:196]
	s_wait_loadcnt_dscnt 0xf01
	v_mul_f64_e32 v[128:129], v[96:97], v[78:79]
	s_wait_loadcnt 0xe
	v_mul_f64_e32 v[124:125], v[66:67], v[74:75]
	v_mul_f64_e32 v[130:131], v[64:65], v[78:79]
	s_wait_loadcnt_dscnt 0xc00
	v_mul_f64_e32 v[140:141], v[100:101], v[94:95]
	v_fma_f64 v[116:117], v[132:133], v[120:121], -v[116:117]
	v_mul_f64_e32 v[132:133], v[98:99], v[74:75]
	v_fma_f64 v[78:79], v[70:71], v[126:127], v[122:123]
	v_fma_f64 v[74:75], v[134:135], v[126:127], -v[138:139]
	v_mul_f64_e32 v[134:135], v[102:103], v[90:91]
	v_mul_f64_e32 v[138:139], v[62:63], v[90:91]
	ds_load_b64 v[126:127], v166
	v_fma_f64 v[114:115], v[68:69], v[120:121], v[114:115]
	v_fma_f64 v[122:123], v[185:186], v[189:190], v[143:144]
	v_fma_f64 v[120:121], v[197:198], v[189:190], -v[145:146]
	ds_load_2addr_b64 v[68:71], v142 offset0:48 offset1:192
	v_mul_f64_e32 v[146:147], v[60:61], v[94:95]
	v_fma_f64 v[94:95], v[187:188], v[193:194], v[191:192]
	s_wait_loadcnt 0xb
	v_mul_f64_e32 v[142:143], v[6:7], v[82:83]
	s_wait_loadcnt 0xa
	v_mul_f64_e32 v[144:145], v[2:3], v[54:55]
	v_fma_f64 v[90:91], v[199:200], v[193:194], -v[195:196]
	s_wait_loadcnt 0x9
	v_mul_f64_e32 v[195:196], v[118:119], v[86:87]
	v_fma_f64 v[197:198], v[64:65], v[76:77], v[128:129]
	s_wait_loadcnt 0x8
	v_mul_f64_e32 v[64:65], v[12:13], v[58:59]
	v_fma_f64 v[124:125], v[98:99], v[72:73], -v[124:125]
	ds_load_b64 v[189:190], v172
	ds_load_b64 v[191:192], v165 offset:26496
	v_fma_f64 v[76:77], v[96:97], v[76:77], -v[130:131]
	ds_load_2addr_b64 v[128:131], v173 offset0:48 offset1:192
	ds_load_2addr_b64 v[185:188], v174 offset0:48 offset1:192
	;; [unrolled: 1-line block ×3, first 2 shown]
	v_lshl_add_u32 v173, v171, 3, 0
	s_wait_dscnt 0x6
	v_mul_f64_e32 v[193:194], v[126:127], v[86:87]
	v_add_nc_u32_e32 v175, 0x5000, v165
	v_add_nc_u32_e32 v174, 0x5800, v165
	s_wait_dscnt 0x5
	v_mul_f64_e32 v[82:83], v[70:71], v[82:83]
	v_fma_f64 v[60:61], v[60:61], v[92:93], v[140:141]
	v_fma_f64 v[66:67], v[66:67], v[72:73], v[132:133]
	s_wait_loadcnt 0x7
	v_mul_f64_e32 v[72:73], v[112:113], v[50:51]
	v_fma_f64 v[62:63], v[62:63], v[88:89], v[134:135]
	v_fma_f64 v[102:103], v[102:103], v[88:89], -v[138:139]
	ds_load_2addr_b64 v[86:89], v176 offset0:16 offset1:160
	s_wait_dscnt 0x3
	v_mul_f64_e32 v[58:59], v[128:129], v[58:59]
	s_wait_dscnt 0x2
	v_mul_f64_e32 v[132:133], v[187:188], v[54:55]
	s_wait_loadcnt_dscnt 0x601
	v_mul_f64_e32 v[134:135], v[96:97], v[42:43]
	s_wait_loadcnt 0x4
	v_mul_f64_e32 v[138:139], v[130:131], v[46:47]
	v_fma_f64 v[92:93], v[100:101], v[92:93], -v[146:147]
	v_mul_f64_e32 v[100:101], v[98:99], v[38:39]
	v_fma_f64 v[140:141], v[70:71], v[80:81], -v[142:143]
	v_fma_f64 v[142:143], v[187:188], v[52:53], -v[144:145]
	v_mul_f64_e32 v[42:43], v[16:17], v[42:43]
	v_mul_f64_e32 v[46:47], v[14:15], v[46:47]
	v_mul_u32_u24_e32 v176, 0x6c0, v183
	ds_load_b64 v[187:188], v165
	v_and_b32_e32 v71, 0xffff, v182
	v_mul_u32_u24_e32 v54, 3, v157
	v_add_nc_u32_e32 v70, 0x3400, v165
	s_delay_alu instid0(VALU_DEP_2)
	v_lshlrev_b32_e32 v54, 4, v54
	s_wait_loadcnt_dscnt 0x201
	v_mul_f64_e32 v[146:147], v[88:89], v[22:23]
	v_fma_f64 v[118:119], v[118:119], v[84:85], v[193:194]
	v_fma_f64 v[84:85], v[126:127], v[84:85], -v[195:196]
	v_mul_f64_e32 v[126:127], v[191:192], v[50:51]
	v_fma_f64 v[195:196], v[128:129], v[56:57], -v[64:65]
	v_mul_f64_e32 v[144:145], v[86:87], v[30:31]
	s_wait_loadcnt 0x1
	v_mul_f64_e32 v[193:194], v[68:69], v[26:27]
	v_fma_f64 v[6:7], v[6:7], v[80:81], v[82:83]
	v_mul_f64_e32 v[30:31], v[8:9], v[30:31]
	v_add_f64_e32 v[82:83], v[120:121], v[76:77]
	v_mul_f64_e32 v[26:27], v[4:5], v[26:27]
	v_mul_u32_u24_e32 v129, 0x6c0, v178
	v_dual_mov_b32 v51, 0 :: v_dual_add_nc_u32 v50, 0xffffffb8, v157
	v_fma_f64 v[191:192], v[191:192], v[48:49], -v[72:73]
	v_lshlrev_b32_e32 v72, 3, v181
	v_mul_u32_u24_e32 v73, 0x6c0, v177
	s_wait_alu 0xf1ff
	v_cndmask_b32_e64 v55, v50, v164, s0
	v_add_nc_u32_e32 v128, 0x1800, v165
	v_fma_f64 v[56:57], v[12:13], v[56:57], v[58:59]
	v_fma_f64 v[2:3], v[2:3], v[52:53], v[132:133]
	s_wait_loadcnt 0x0
	v_mul_f64_e32 v[58:59], v[185:186], v[34:35]
	v_mul_f64_e32 v[34:35], v[0:1], v[34:35]
	v_fma_f64 v[16:17], v[16:17], v[40:41], v[134:135]
	v_fma_f64 v[52:53], v[18:19], v[36:37], v[100:101]
	v_mul_f64_e32 v[18:19], v[18:19], v[38:39]
	v_add_f64_e32 v[38:39], v[140:141], v[142:143]
	v_fma_f64 v[14:15], v[14:15], v[44:45], v[138:139]
	v_fma_f64 v[44:45], v[130:131], v[44:45], -v[46:47]
	v_fma_f64 v[40:41], v[96:97], v[40:41], -v[42:43]
	v_add_f64_e32 v[42:43], v[122:123], v[197:198]
	v_add_f64_e64 v[96:97], v[122:123], -v[197:198]
	v_mul_i32_i24_e32 v50, 3, v55
	v_add_nc_u32_e32 v64, 0x2400, v165
	v_add_nc_u32_e32 v65, 0x3c00, v165
	v_lshlrev_b32_e32 v55, 3, v55
	s_delay_alu instid0(VALU_DEP_4)
	v_lshlrev_b64_e32 v[12:13], 4, v[50:51]
	v_fma_f64 v[80:81], v[10:11], v[20:21], v[146:147]
	v_mul_f64_e32 v[10:11], v[10:11], v[22:23]
	v_mul_u32_u24_e32 v50, 0x6c0, v71
	v_fma_f64 v[22:23], v[112:113], v[48:49], v[126:127]
	v_add_f64_e32 v[48:49], v[90:91], v[124:125]
	v_lshlrev_b32_e32 v126, 3, v184
	v_fma_f64 v[8:9], v[8:9], v[28:29], v[144:145]
	v_fma_f64 v[4:5], v[4:5], v[24:25], v[193:194]
	v_fma_f64 v[28:29], v[86:87], v[28:29], -v[30:31]
	v_fma_f64 v[82:83], v[82:83], -0.5, v[116:117]
	v_add3_u32 v181, 0, v176, v126
	v_lshlrev_b32_e32 v112, 3, v179
	v_lshlrev_b32_e32 v113, 3, v180
	v_add_f64_e32 v[116:117], v[116:117], v[120:121]
	v_add_f64_e32 v[100:101], v[195:196], v[191:192]
	v_add_f64_e64 v[120:121], v[120:121], -v[76:77]
	v_add3_u32 v135, 0, v73, v112
	v_add3_u32 v180, 0, v129, v113
	s_wait_dscnt 0x0
	v_add_f64_e32 v[144:145], v[187:188], v[102:103]
	v_add_co_u32 v12, s0, s4, v12
	v_add_f64_e32 v[46:47], v[6:7], v[2:3]
	v_add_f64_e64 v[126:127], v[6:7], -v[2:3]
	v_fma_f64 v[0:1], v[0:1], v[32:33], v[58:59]
	ds_load_b64 v[58:59], v148
	ds_load_b64 v[112:113], v149
	v_fma_f64 v[18:19], v[98:99], v[36:37], -v[18:19]
	v_fma_f64 v[38:39], v[38:39], -0.5, v[84:85]
	v_add_f64_e32 v[36:37], v[94:95], v[66:67]
	v_add_f64_e64 v[98:99], v[94:95], -v[66:67]
	v_add_f64_e32 v[6:7], v[118:119], v[6:7]
	v_add_f64_e32 v[94:95], v[78:79], v[94:95]
	;; [unrolled: 1-line block ×4, first 2 shown]
	v_fma_f64 v[42:43], v[42:43], -0.5, v[114:115]
	v_add3_u32 v50, 0, v50, v72
	s_wait_alu 0xf1ff
	v_add_co_ci_u32_e64 v13, s0, s5, v13, s0
	v_add_nc_u32_e32 v71, 0x2c00, v165
	v_add_f64_e32 v[129:130], v[52:53], v[80:81]
	v_fma_f64 v[10:11], v[88:89], v[20:21], -v[10:11]
	v_fma_f64 v[20:21], v[68:69], v[24:25], -v[26:27]
	v_add_f64_e32 v[30:31], v[56:57], v[22:23]
	v_fma_f64 v[48:49], v[48:49], -0.5, v[74:75]
	v_add_f64_e64 v[86:87], v[56:57], -v[22:23]
	v_fma_f64 v[24:25], v[185:186], v[32:33], -v[34:35]
	v_add_f64_e32 v[26:27], v[62:63], v[14:15]
	v_add_f64_e32 v[32:33], v[108:109], v[62:63]
	;; [unrolled: 1-line block ×5, first 2 shown]
	v_add_f64_e64 v[122:123], v[140:141], -v[142:143]
	v_add_f64_e32 v[56:57], v[60:61], v[56:57]
	v_fma_f64 v[100:101], v[100:101], -0.5, v[92:93]
	v_add_f64_e32 v[138:139], v[104:105], v[4:5]
	v_add_f64_e32 v[140:141], v[102:103], v[44:45]
	;; [unrolled: 1-line block ×3, first 2 shown]
	v_add_f64_e64 v[90:91], v[90:91], -v[124:125]
	v_fma_f64 v[114:115], v[96:97], s[2:3], v[82:83]
	v_fma_f64 v[82:83], v[96:97], s[6:7], v[82:83]
	v_fma_f64 v[46:47], v[46:47], -0.5, v[118:119]
	v_add_f64_e64 v[146:147], v[40:41], -v[28:29]
	v_add_f64_e32 v[133:134], v[4:5], v[0:1]
	v_add_f64_e64 v[62:63], v[62:63], -v[14:15]
	v_add_f64_e64 v[16:17], v[16:17], -v[8:9]
	v_fma_f64 v[118:119], v[126:127], s[2:3], v[38:39]
	v_fma_f64 v[36:37], v[36:37], -0.5, v[78:79]
	v_fma_f64 v[38:39], v[126:127], s[6:7], v[38:39]
	v_add_f64_e64 v[78:79], v[195:196], -v[191:192]
	v_add_f64_e32 v[92:93], v[92:93], v[195:196]
	v_add_f64_e64 v[102:103], v[102:103], -v[44:45]
	v_add_f64_e64 v[4:5], v[4:5], -v[0:1]
	v_add_f64_e32 v[2:3], v[6:7], v[2:3]
	v_add_f64_e64 v[52:53], v[52:53], -v[80:81]
	v_add_f64_e32 v[44:45], v[144:145], v[44:45]
	v_add_f64_e32 v[84:85], v[84:85], v[142:143]
	v_add_nc_u32_e32 v72, 0x4800, v165
	v_add_nc_u32_e32 v73, 0x6000, v165
	v_add_f64_e64 v[176:177], v[18:19], -v[10:11]
	global_wb scope:SCOPE_SE
	s_wait_dscnt 0x0
	v_fma_f64 v[30:31], v[30:31], -0.5, v[60:61]
	v_fma_f64 v[96:97], v[98:99], s[2:3], v[48:49]
	v_fma_f64 v[48:49], v[98:99], s[6:7], v[48:49]
	v_add_f64_e32 v[60:61], v[40:41], v[28:29]
	v_add_f64_e32 v[40:41], v[189:190], v[40:41]
	;; [unrolled: 1-line block ×3, first 2 shown]
	v_add_f64_e64 v[178:179], v[20:21], -v[24:25]
	v_add_f64_e32 v[20:21], v[112:113], v[20:21]
	v_fma_f64 v[6:7], v[26:27], -0.5, v[108:109]
	v_add_f64_e32 v[14:15], v[32:33], v[14:15]
	v_add_f64_e32 v[26:27], v[34:35], v[197:198]
	v_fma_f64 v[98:99], v[86:87], s[2:3], v[100:101]
	v_fma_f64 v[86:87], v[86:87], s[6:7], v[100:101]
	v_add_f64_e32 v[100:101], v[18:19], v[10:11]
	v_add_f64_e32 v[18:19], v[58:59], v[18:19]
	v_fma_f64 v[32:33], v[68:69], -0.5, v[110:111]
	v_add_f64_e32 v[8:9], v[88:89], v[8:9]
	v_add_f64_e32 v[34:35], v[94:95], v[66:67]
	v_fma_f64 v[66:67], v[129:130], -0.5, v[106:107]
	v_add_f64_e32 v[68:69], v[131:132], v[80:81]
	v_fma_f64 v[88:89], v[122:123], s[6:7], v[46:47]
	v_fma_f64 v[46:47], v[122:123], s[2:3], v[46:47]
	;; [unrolled: 1-line block ×3, first 2 shown]
	v_mul_f64_e32 v[94:95], s[6:7], v[118:119]
	v_fma_f64 v[42:43], v[120:121], s[2:3], v[42:43]
	v_fma_f64 v[120:121], v[90:91], s[6:7], v[36:37]
	;; [unrolled: 1-line block ×3, first 2 shown]
	v_add_f64_e32 v[22:23], v[56:57], v[22:23]
	v_add_f64_e32 v[0:1], v[138:139], v[0:1]
	v_fma_f64 v[56:57], v[140:141], -0.5, v[187:188]
	v_fma_f64 v[80:81], v[133:134], -0.5, v[104:105]
	v_mul_f64_e32 v[104:105], s[6:7], v[38:39]
	v_mul_f64_e32 v[38:39], -0.5, v[38:39]
	v_mul_f64_e32 v[108:109], s[6:7], v[114:115]
	v_mul_f64_e32 v[110:111], s[6:7], v[82:83]
	v_mul_f64_e32 v[82:83], -0.5, v[82:83]
	s_barrier_signal -1
	s_barrier_wait -1
	v_fma_f64 v[129:130], v[78:79], s[6:7], v[30:31]
	v_mul_f64_e32 v[90:91], s[6:7], v[96:97]
	v_mul_f64_e32 v[122:123], s[6:7], v[48:49]
	v_fma_f64 v[60:61], v[60:61], -0.5, v[189:190]
	v_add_f64_e32 v[28:29], v[40:41], v[28:29]
	v_add_f64_e32 v[40:41], v[116:117], v[76:77]
	v_mul_f64_e32 v[76:77], 0.5, v[114:115]
	v_mul_f64_e32 v[96:97], 0.5, v[96:97]
	v_mul_f64_e32 v[48:49], -0.5, v[48:49]
	v_fma_f64 v[30:31], v[78:79], s[2:3], v[30:31]
	v_add_f64_e32 v[20:21], v[20:21], v[24:25]
	v_mul_f64_e32 v[78:79], s[6:7], v[98:99]
	v_mul_f64_e32 v[98:99], 0.5, v[98:99]
	v_fma_f64 v[58:59], v[100:101], -0.5, v[58:59]
	v_add_f64_e32 v[10:11], v[18:19], v[10:11]
	v_add_f64_e32 v[18:19], v[74:75], v[124:125]
	v_mul_f64_e32 v[74:75], 0.5, v[118:119]
	v_fma_f64 v[100:101], v[126:127], -0.5, v[112:113]
	v_mul_f64_e32 v[131:132], s[6:7], v[86:87]
	v_mul_f64_e32 v[86:87], -0.5, v[86:87]
	v_add_f64_e32 v[24:25], v[92:93], v[191:192]
	v_fma_f64 v[92:93], v[102:103], s[6:7], v[6:7]
	v_fma_f64 v[6:7], v[102:103], s[2:3], v[6:7]
	v_fma_f64 v[94:95], v[88:89], 0.5, v[94:95]
	v_fma_f64 v[112:113], v[176:177], s[6:7], v[66:67]
	v_fma_f64 v[66:67], v[176:177], s[2:3], v[66:67]
	global_inv scope:SCOPE_SE
	v_cmp_lt_u32_e64 s0, 0x47, v157
	v_fma_f64 v[116:117], v[178:179], s[6:7], v[80:81]
	v_fma_f64 v[102:103], v[46:47], -0.5, v[104:105]
	v_fma_f64 v[38:39], v[46:47], s[2:3], v[38:39]
	v_fma_f64 v[104:105], v[146:147], s[6:7], v[32:33]
	v_fma_f64 v[108:109], v[106:107], 0.5, v[108:109]
	v_fma_f64 v[32:33], v[146:147], s[2:3], v[32:33]
	v_fma_f64 v[110:111], v[42:43], -0.5, v[110:111]
	v_fma_f64 v[42:43], v[42:43], s[2:3], v[82:83]
	v_fma_f64 v[80:81], v[178:179], s[2:3], v[80:81]
	v_fma_f64 v[90:91], v[120:121], 0.5, v[90:91]
	v_fma_f64 v[114:115], v[36:37], -0.5, v[122:123]
	v_add_f64_e32 v[122:123], v[14:15], v[2:3]
	v_add_f64_e64 v[2:3], v[14:15], -v[2:3]
	v_add_f64_e32 v[14:15], v[8:9], v[26:27]
	v_add_f64_e64 v[8:9], v[8:9], -v[26:27]
	;; [unrolled: 2-line block ×4, first 2 shown]
	v_fma_f64 v[22:23], v[62:63], s[2:3], v[56:57]
	v_fma_f64 v[56:57], v[62:63], s[6:7], v[56:57]
	;; [unrolled: 1-line block ×10, first 2 shown]
	v_fma_f64 v[78:79], v[129:130], 0.5, v[78:79]
	v_fma_f64 v[74:75], v[4:5], s[2:3], v[100:101]
	v_fma_f64 v[48:49], v[129:130], s[2:3], v[98:99]
	v_fma_f64 v[118:119], v[30:31], -0.5, v[131:132]
	v_fma_f64 v[4:5], v[4:5], s[6:7], v[100:101]
	v_fma_f64 v[30:31], v[30:31], s[2:3], v[86:87]
	v_add_f64_e32 v[82:83], v[92:93], v[94:95]
	v_add_f64_e32 v[106:107], v[44:45], v[84:85]
	v_add_f64_e64 v[84:85], v[44:45], -v[84:85]
	v_add_f64_e64 v[88:89], v[92:93], -v[94:95]
	v_add_f64_e32 v[86:87], v[6:7], v[102:103]
	v_add_f64_e64 v[6:7], v[6:7], -v[102:103]
	v_add_f64_e32 v[92:93], v[104:105], v[108:109]
	;; [unrolled: 2-line block ×3, first 2 shown]
	v_add_f64_e32 v[94:95], v[32:33], v[110:111]
	v_add_f64_e64 v[32:33], v[32:33], -v[110:111]
	v_add_f64_e64 v[110:111], v[28:29], -v[40:41]
	v_add_f64_e32 v[98:99], v[112:113], v[90:91]
	v_add_f64_e64 v[90:91], v[112:113], -v[90:91]
	v_add_f64_e32 v[112:113], v[10:11], v[18:19]
	v_add_f64_e32 v[100:101], v[66:67], v[114:115]
	v_add_f64_e64 v[66:67], v[66:67], -v[114:115]
	v_add_f64_e64 v[114:115], v[10:11], -v[18:19]
	v_add_f64_e32 v[124:125], v[56:57], v[38:39]
	v_add_f64_e64 v[126:127], v[56:57], -v[38:39]
	v_add_f64_e32 v[131:132], v[16:17], v[42:43]
	v_add_f64_e64 v[133:134], v[16:17], -v[42:43]
	v_add_f64_e32 v[120:121], v[22:23], v[60:61]
	v_add_f64_e64 v[60:61], v[22:23], -v[60:61]
	v_add_f64_e32 v[129:130], v[62:63], v[58:59]
	v_add_f64_e64 v[62:63], v[62:63], -v[58:59]
	v_add_f64_e32 v[138:139], v[46:47], v[76:77]
	v_add_f64_e32 v[140:141], v[52:53], v[36:37]
	v_add_f64_e64 v[76:77], v[46:47], -v[76:77]
	v_add_f64_e64 v[52:53], v[52:53], -v[36:37]
	v_add_f64_e32 v[102:103], v[116:117], v[78:79]
	v_add_f64_e64 v[78:79], v[116:117], -v[78:79]
	v_add_f64_e32 v[116:117], v[20:21], v[24:25]
	v_add_f64_e32 v[142:143], v[74:75], v[48:49]
	;; [unrolled: 1-line block ×3, first 2 shown]
	v_add_f64_e64 v[80:81], v[80:81], -v[118:119]
	v_add_f64_e64 v[118:119], v[20:21], -v[24:25]
	;; [unrolled: 1-line block ×3, first 2 shown]
	v_add_f64_e32 v[74:75], v[4:5], v[30:31]
	v_add_f64_e64 v[144:145], v[4:5], -v[30:31]
	ds_store_2addr_b64 v50, v[122:123], v[82:83] offset1:36
	ds_store_2addr_b64 v50, v[86:87], v[2:3] offset0:72 offset1:108
	ds_store_2addr_b64 v50, v[88:89], v[6:7] offset0:144 offset1:180
	ds_store_2addr_b64 v135, v[14:15], v[92:93] offset1:36
	ds_store_2addr_b64 v135, v[94:95], v[8:9] offset0:72 offset1:108
	ds_store_2addr_b64 v135, v[96:97], v[32:33] offset0:144 offset1:180
	;; [unrolled: 3-line block ×4, first 2 shown]
	global_wb scope:SCOPE_SE
	s_wait_dscnt 0x0
	s_barrier_signal -1
	s_barrier_wait -1
	global_inv scope:SCOPE_SE
	ds_load_b64 v[6:7], v148
	ds_load_b64 v[0:1], v149
	ds_load_b64 v[8:9], v165
	ds_load_b64 v[2:3], v166
	ds_load_b64 v[10:11], v172
	ds_load_b64 v[4:5], v173
	ds_load_2addr_b64 v[16:19], v128 offset0:96 offset1:240
	ds_load_2addr_b64 v[20:23], v70 offset0:64 offset1:208
	;; [unrolled: 1-line block ×3, first 2 shown]
	ds_load_2addr_b64 v[28:31], v64 offset1:144
	ds_load_2addr_b64 v[32:35], v65 offset0:96 offset1:240
	ds_load_2addr_b64 v[36:39], v174 offset0:64 offset1:208
	;; [unrolled: 1-line block ×3, first 2 shown]
	ds_load_2addr_b64 v[44:47], v72 offset1:144
	ds_load_2addr_b64 v[56:59], v73 offset0:96 offset1:240
	global_wb scope:SCOPE_SE
	s_wait_dscnt 0x0
	s_barrier_signal -1
	s_barrier_wait -1
	global_inv scope:SCOPE_SE
	ds_store_2addr_b64 v50, v[106:107], v[120:121] offset1:36
	ds_store_2addr_b64 v50, v[124:125], v[84:85] offset0:72 offset1:108
	ds_store_2addr_b64 v50, v[60:61], v[126:127] offset0:144 offset1:180
	ds_store_2addr_b64 v135, v[108:109], v[129:130] offset1:36
	ds_store_2addr_b64 v135, v[131:132], v[110:111] offset0:72 offset1:108
	ds_store_2addr_b64 v135, v[62:63], v[133:134] offset0:144 offset1:180
	;; [unrolled: 3-line block ×4, first 2 shown]
	global_wb scope:SCOPE_SE
	s_wait_dscnt 0x0
	s_barrier_signal -1
	s_barrier_wait -1
	global_inv scope:SCOPE_SE
	s_clause 0x1
	global_load_b128 v[60:63], v54, s[4:5] offset:3360
	global_load_b128 v[66:69], v[12:13], off offset:3360
	v_lshrrev_b16 v14, 3, v150
	s_clause 0x1
	global_load_b128 v[78:81], v[12:13], off offset:3376
	global_load_b128 v[86:89], v[12:13], off offset:3392
	v_lshrrev_b16 v15, 3, v169
	v_lshrrev_b16 v48, 3, v171
	v_and_b32_e32 v14, 0xffff, v14
	s_clause 0x1
	global_load_b128 v[74:77], v54, s[4:5] offset:3376
	global_load_b128 v[82:85], v54, s[4:5] offset:3392
	v_and_b32_e32 v15, 0xffff, v15
	v_and_b32_e32 v48, 0xffff, v48
	v_mul_u32_u24_e32 v14, 0x12f7, v14
	s_delay_alu instid0(VALU_DEP_3) | instskip(NEXT) | instid1(VALU_DEP_3)
	v_mul_u32_u24_e32 v15, 0x12f7, v15
	v_mul_u32_u24_e32 v48, 0x12f7, v48
	s_delay_alu instid0(VALU_DEP_3) | instskip(NEXT) | instid1(VALU_DEP_3)
	v_lshrrev_b32_e32 v14, 17, v14
	v_lshrrev_b32_e32 v15, 17, v15
	s_delay_alu instid0(VALU_DEP_3) | instskip(NEXT) | instid1(VALU_DEP_3)
	v_lshrrev_b32_e32 v12, 17, v48
	v_mul_lo_u16 v14, 0xd8, v14
	s_delay_alu instid0(VALU_DEP_2) | instskip(NEXT) | instid1(VALU_DEP_2)
	v_mul_lo_u16 v48, 0xd8, v12
	v_sub_nc_u16 v13, v150, v14
	v_mul_lo_u16 v14, 0xd8, v15
	v_mul_u32_u24_e32 v15, 0x1b00, v15
	s_delay_alu instid0(VALU_DEP_4) | instskip(NEXT) | instid1(VALU_DEP_4)
	v_sub_nc_u16 v48, v171, v48
	v_and_b32_e32 v12, 0xffff, v13
	s_delay_alu instid0(VALU_DEP_4) | instskip(NEXT) | instid1(VALU_DEP_2)
	v_sub_nc_u16 v13, v169, v14
	v_mul_u32_u24_e32 v49, 3, v12
	s_delay_alu instid0(VALU_DEP_2) | instskip(SKIP_2) | instid1(VALU_DEP_4)
	v_and_b32_e32 v14, 0xffff, v13
	v_and_b32_e32 v13, 0xffff, v48
	v_lshl_add_u32 v12, v12, 3, 0
	v_lshlrev_b32_e32 v48, 4, v49
	s_delay_alu instid0(VALU_DEP_4) | instskip(NEXT) | instid1(VALU_DEP_4)
	v_mul_u32_u24_e32 v49, 3, v14
	v_mul_u32_u24_e32 v50, 3, v13
	s_clause 0x1
	global_load_b128 v[90:93], v54, s[4:5] offset:6816
	global_load_b128 v[94:97], v48, s[4:5] offset:3360
	v_lshlrev_b32_e32 v14, 3, v14
	v_lshlrev_b32_e32 v49, 4, v49
	v_lshlrev_b32_e32 v50, 4, v50
	s_clause 0x9
	global_load_b128 v[98:101], v54, s[4:5] offset:6848
	global_load_b128 v[102:105], v48, s[4:5] offset:3392
	;; [unrolled: 1-line block ×10, first 2 shown]
	ds_load_2addr_b64 v[176:179], v128 offset0:96 offset1:240
	ds_load_2addr_b64 v[180:183], v70 offset0:64 offset1:208
	;; [unrolled: 1-line block ×3, first 2 shown]
	v_lshl_add_u32 v50, v157, 3, 0
	v_lshl_add_u32 v13, v13, 3, 0
	s_wait_loadcnt_dscnt 0x1102
	v_mul_f64_e32 v[48:49], v[176:177], v[62:63]
	s_wait_loadcnt 0x10
	v_mul_f64_e32 v[126:127], v[178:179], v[68:69]
	v_mul_f64_e32 v[52:53], v[16:17], v[62:63]
	s_wait_loadcnt_dscnt 0xf01
	v_mul_f64_e32 v[146:147], v[182:183], v[80:81]
	v_mul_f64_e32 v[80:81], v[22:23], v[80:81]
	;; [unrolled: 1-line block ×3, first 2 shown]
	s_wait_loadcnt_dscnt 0xe00
	v_mul_f64_e32 v[190:191], v[186:187], v[88:89]
	v_mul_f64_e32 v[88:89], v[26:27], v[88:89]
	s_wait_loadcnt 0xd
	v_mul_f64_e32 v[133:134], v[180:181], v[76:77]
	v_mul_f64_e32 v[76:77], v[20:21], v[76:77]
	s_wait_loadcnt 0xc
	v_mul_f64_e32 v[188:189], v[184:185], v[84:85]
	v_mul_f64_e32 v[84:85], v[24:25], v[84:85]
	v_fma_f64 v[48:49], v[16:17], v[60:61], v[48:49]
	v_fma_f64 v[126:127], v[18:19], v[66:67], v[126:127]
	ds_load_2addr_b64 v[16:19], v174 offset0:64 offset1:208
	v_fma_f64 v[146:147], v[22:23], v[78:79], v[146:147]
	v_fma_f64 v[78:79], v[182:183], v[78:79], -v[80:81]
	v_fma_f64 v[52:53], v[176:177], v[60:61], -v[52:53]
	;; [unrolled: 1-line block ×3, first 2 shown]
	ds_load_2addr_b64 v[176:179], v65 offset0:96 offset1:240
	v_fma_f64 v[133:134], v[20:21], v[74:75], v[133:134]
	v_fma_f64 v[180:181], v[180:181], v[74:75], -v[76:77]
	ds_load_2addr_b64 v[74:77], v73 offset0:96 offset1:240
	ds_load_2addr_b64 v[60:63], v64 offset1:144
	ds_load_2addr_b64 v[66:69], v71 offset0:32 offset1:176
	ds_load_2addr_b64 v[20:23], v72 offset1:144
	v_fma_f64 v[24:25], v[24:25], v[82:83], v[188:189]
	v_fma_f64 v[82:83], v[184:185], v[82:83], -v[84:85]
	v_fma_f64 v[26:27], v[26:27], v[86:87], v[190:191]
	v_fma_f64 v[86:87], v[186:187], v[86:87], -v[88:89]
	s_wait_loadcnt 0xb
	v_mul_f64_e32 v[88:89], v[28:29], v[92:93]
	s_wait_loadcnt_dscnt 0x905
	v_mul_f64_e32 v[80:81], v[16:17], v[100:101]
	s_wait_loadcnt 0x8
	v_mul_f64_e32 v[182:183], v[18:19], v[104:105]
	s_wait_loadcnt_dscnt 0x504
	v_mul_f64_e32 v[84:85], v[176:177], v[116:117]
	;; [unrolled: 4-line block ×3, first 2 shown]
	s_wait_dscnt 0x2
	v_mul_f64_e32 v[194:195], v[60:61], v[92:93]
	v_mul_f64_e32 v[196:197], v[62:63], v[96:97]
	s_wait_dscnt 0x1
	v_mul_f64_e32 v[198:199], v[66:67], v[108:109]
	v_mul_f64_e32 v[92:93], v[30:31], v[96:97]
	;; [unrolled: 1-line block ×9, first 2 shown]
	s_wait_loadcnt_dscnt 0x0
	v_mul_f64_e32 v[124:125], v[22:23], v[144:145]
	v_add_f64_e64 v[24:25], v[48:49], -v[24:25]
	v_add_f64_e64 v[82:83], v[52:53], -v[82:83]
	;; [unrolled: 1-line block ×4, first 2 shown]
	v_fma_f64 v[60:61], v[60:61], v[90:91], -v[88:89]
	v_fma_f64 v[36:37], v[36:37], v[98:99], v[80:81]
	v_mul_f64_e32 v[80:81], v[40:41], v[108:109]
	v_mul_f64_e32 v[108:109], v[20:21], v[140:141]
	v_fma_f64 v[38:39], v[38:39], v[102:103], v[182:183]
	v_fma_f64 v[32:33], v[32:33], v[114:115], v[84:85]
	;; [unrolled: 1-line block ×3, first 2 shown]
	v_mul_f64_e32 v[34:35], v[34:35], v[120:121]
	v_fma_f64 v[120:121], v[58:59], v[129:130], v[190:191]
	v_mul_f64_e32 v[58:59], v[58:59], v[131:132]
	v_fma_f64 v[28:29], v[28:29], v[90:91], v[194:195]
	v_fma_f64 v[30:31], v[30:31], v[94:95], v[196:197]
	;; [unrolled: 1-line block ×3, first 2 shown]
	v_fma_f64 v[16:17], v[16:17], v[98:99], -v[96:97]
	v_fma_f64 v[42:43], v[42:43], v[110:111], v[200:201]
	v_fma_f64 v[56:57], v[56:57], v[122:123], v[188:189]
	v_fma_f64 v[62:63], v[62:63], v[94:95], -v[92:93]
	v_fma_f64 v[18:19], v[18:19], v[102:103], -v[100:101]
	;; [unrolled: 1-line block ×4, first 2 shown]
	v_fma_f64 v[124:125], v[46:47], v[142:143], v[124:125]
	v_mul_f64_e32 v[46:47], v[46:47], v[144:145]
	ds_load_b64 v[88:89], v165
	ds_load_b64 v[90:91], v172
	;; [unrolled: 1-line block ×6, first 2 shown]
	global_wb scope:SCOPE_SE
	s_wait_dscnt 0x0
	s_barrier_signal -1
	s_barrier_wait -1
	global_inv scope:SCOPE_SE
	v_add_nc_u32_e32 v116, 0x1d00, v50
	v_add_nc_u32_e32 v50, 0x2a00, v50
	v_fma_f64 v[48:49], v[48:49], 2.0, -v[24:25]
	v_fma_f64 v[52:53], v[52:53], 2.0, -v[82:83]
	v_add_nc_u32_e32 v122, 0x5000, v13
	v_add_nc_u32_e32 v123, 0x5e00, v13
	v_fma_f64 v[66:67], v[66:67], v[106:107], -v[80:81]
	v_fma_f64 v[108:109], v[44:45], v[138:139], v[108:109]
	v_mul_f64_e32 v[44:45], v[44:45], v[140:141]
	v_add_f64_e64 v[104:105], v[88:89], -v[180:181]
	v_add_f64_e64 v[32:33], v[6:7], -v[32:33]
	;; [unrolled: 1-line block ×3, first 2 shown]
	v_fma_f64 v[34:35], v[178:179], v[118:119], -v[34:35]
	v_add_f64_e64 v[78:79], v[90:91], -v[78:79]
	v_fma_f64 v[58:59], v[76:77], v[129:130], -v[58:59]
	v_fma_f64 v[76:77], v[176:177], v[114:115], -v[112:113]
	v_add_f64_e64 v[36:37], v[28:29], -v[36:37]
	v_add_f64_e64 v[38:39], v[30:31], -v[38:39]
	;; [unrolled: 1-line block ×5, first 2 shown]
	v_fma_f64 v[106:107], v[126:127], 2.0, -v[26:27]
	v_add_f64_e64 v[18:19], v[62:63], -v[18:19]
	v_add3_u32 v119, 0, v15, v14
	v_add_nc_u32_e32 v120, 0x3600, v12
	v_add_f64_e64 v[92:93], v[4:5], -v[124:125]
	v_fma_f64 v[22:23], v[22:23], v[142:143], -v[46:47]
	v_add_f64_e64 v[46:47], v[10:11], -v[146:147]
	v_add_nc_u32_e32 v121, 0x4300, v12
	v_add_nc_u32_e32 v124, 0xd00, v119
	v_add_f64_e64 v[74:75], v[66:67], -v[74:75]
	v_add_f64_e64 v[84:85], v[2:3], -v[108:109]
	v_fma_f64 v[20:21], v[20:21], v[138:139], -v[44:45]
	v_add_f64_e64 v[44:45], v[8:9], -v[133:134]
	v_fma_f64 v[6:7], v[6:7], 2.0, -v[32:33]
	v_fma_f64 v[0:1], v[0:1], 2.0, -v[80:81]
	v_add_f64_e64 v[34:35], v[98:99], -v[34:35]
	v_add_f64_e64 v[112:113], v[78:79], -v[26:27]
	;; [unrolled: 1-line block ×4, first 2 shown]
	v_fma_f64 v[28:29], v[28:29], 2.0, -v[36:37]
	v_fma_f64 v[30:31], v[30:31], 2.0, -v[38:39]
	;; [unrolled: 1-line block ×5, first 2 shown]
	v_add_f64_e32 v[16:17], v[32:33], v[16:17]
	v_fma_f64 v[62:63], v[62:63], 2.0, -v[18:19]
	v_add_f64_e32 v[18:19], v[80:81], v[18:19]
	v_fma_f64 v[4:5], v[4:5], 2.0, -v[92:93]
	v_add_f64_e64 v[22:23], v[102:103], -v[22:23]
	v_fma_f64 v[10:11], v[10:11], 2.0, -v[46:47]
	v_add_f64_e32 v[110:111], v[46:47], v[86:87]
	v_fma_f64 v[86:87], v[192:193], 2.0, -v[86:87]
	v_fma_f64 v[66:67], v[66:67], 2.0, -v[74:75]
	v_fma_f64 v[2:3], v[2:3], 2.0, -v[84:85]
	v_add_f64_e64 v[20:21], v[100:101], -v[20:21]
	v_fma_f64 v[8:9], v[8:9], 2.0, -v[44:45]
	v_add_f64_e32 v[108:109], v[44:45], v[82:83]
	v_fma_f64 v[82:83], v[88:89], 2.0, -v[104:105]
	v_fma_f64 v[88:89], v[90:91], 2.0, -v[78:79]
	v_add_f64_e32 v[74:75], v[84:85], v[74:75]
	v_fma_f64 v[68:69], v[68:69], 2.0, -v[58:59]
	v_fma_f64 v[90:91], v[96:97], 2.0, -v[76:77]
	;; [unrolled: 1-line block ×3, first 2 shown]
	v_add_f64_e64 v[28:29], v[6:7], -v[28:29]
	v_add_f64_e64 v[30:31], v[0:1], -v[30:31]
	v_add_f64_e32 v[58:59], v[92:93], v[58:59]
	v_add_f64_e64 v[36:37], v[76:77], -v[36:37]
	v_add_f64_e64 v[38:39], v[34:35], -v[38:39]
	v_fma_f64 v[32:33], v[32:33], 2.0, -v[16:17]
	v_fma_f64 v[78:79], v[78:79], 2.0, -v[112:113]
	v_add_f64_e64 v[42:43], v[4:5], -v[42:43]
	v_add_f64_e64 v[94:95], v[22:23], -v[94:95]
	v_fma_f64 v[26:27], v[46:47], 2.0, -v[110:111]
	v_add_f64_e64 v[40:41], v[2:3], -v[40:41]
	v_fma_f64 v[98:99], v[100:101], 2.0, -v[20:21]
	;; [unrolled: 2-line block ×3, first 2 shown]
	v_add_f64_e64 v[102:103], v[10:11], -v[106:107]
	s_wait_alu 0xf1ff
	v_cndmask_b32_e64 v106, 0, 0x1b00, s0
	v_add_f64_e64 v[46:47], v[88:89], -v[86:87]
	s_delay_alu instid0(VALU_DEP_2)
	v_add3_u32 v117, 0, v106, v55
	v_add_f64_e64 v[106:107], v[104:105], -v[24:25]
	v_fma_f64 v[24:25], v[44:45], 2.0, -v[108:109]
	v_add_f64_e64 v[44:45], v[82:83], -v[52:53]
	v_add_f64_e64 v[52:53], v[90:91], -v[60:61]
	;; [unrolled: 1-line block ×4, first 2 shown]
	v_fma_f64 v[6:7], v[6:7], 2.0, -v[28:29]
	v_fma_f64 v[0:1], v[0:1], 2.0, -v[30:31]
	;; [unrolled: 1-line block ×3, first 2 shown]
	v_add_nc_u32_e32 v57, 0xd00, v165
	v_add_nc_u32_e32 v118, 0xd00, v117
	v_fma_f64 v[76:77], v[76:77], 2.0, -v[36:37]
	v_fma_f64 v[114:115], v[22:23], 2.0, -v[94:95]
	;; [unrolled: 1-line block ×3, first 2 shown]
	v_add_f64_e64 v[62:63], v[98:99], -v[66:67]
	v_fma_f64 v[8:9], v[8:9], 2.0, -v[48:49]
	v_add_f64_e64 v[66:67], v[100:101], -v[68:69]
	v_fma_f64 v[10:11], v[10:11], 2.0, -v[102:103]
	v_fma_f64 v[68:69], v[80:81], 2.0, -v[18:19]
	;; [unrolled: 1-line block ×4, first 2 shown]
	ds_store_2addr_b64 v57, v[48:49], v[108:109] offset0:16 offset1:232
	v_fma_f64 v[92:93], v[34:35], 2.0, -v[38:39]
	ds_store_2addr_b64 v165, v[8:9], v[24:25] offset1:216
	ds_store_2addr_b64 v117, v[10:11], v[26:27] offset1:216
	ds_store_2addr_b64 v118, v[102:103], v[110:111] offset0:16 offset1:232
	ds_store_2addr_b64 v116, v[6:7], v[32:33] offset0:8 offset1:224
	ds_store_2addr_b64 v50, v[28:29], v[16:17] offset0:24 offset1:240
	ds_store_2addr_b64 v120, v[0:1], v[68:69] offset1:216
	ds_store_2addr_b64 v121, v[30:31], v[18:19] offset0:16 offset1:232
	ds_store_2addr_b64 v119, v[2:3], v[80:81] offset1:216
	ds_store_2addr_b64 v124, v[40:41], v[74:75] offset0:16 offset1:232
	ds_store_2addr_b64 v122, v[4:5], v[84:85] offset0:32 offset1:248
	ds_store_2addr_b64 v123, v[42:43], v[58:59] offset0:16 offset1:232
	v_fma_f64 v[86:87], v[104:105], 2.0, -v[106:107]
	v_fma_f64 v[48:49], v[82:83], 2.0, -v[44:45]
	;; [unrolled: 1-line block ×5, first 2 shown]
	global_wb scope:SCOPE_SE
	s_wait_dscnt 0x0
	s_barrier_signal -1
	s_barrier_wait -1
	global_inv scope:SCOPE_SE
	ds_load_2addr_b64 v[24:27], v128 offset0:96 offset1:240
	ds_load_2addr_b64 v[28:31], v70 offset0:64 offset1:208
	;; [unrolled: 1-line block ×3, first 2 shown]
	ds_load_b64 v[142:143], v148
	ds_load_b64 v[140:141], v149
	;; [unrolled: 1-line block ×6, first 2 shown]
	ds_load_2addr_b64 v[0:3], v64 offset1:144
	ds_load_2addr_b64 v[32:35], v65 offset0:96 offset1:240
	ds_load_2addr_b64 v[8:11], v174 offset0:64 offset1:208
	;; [unrolled: 1-line block ×3, first 2 shown]
	ds_load_2addr_b64 v[4:7], v72 offset1:144
	ds_load_2addr_b64 v[12:15], v73 offset0:96 offset1:240
	v_fma_f64 v[90:91], v[96:97], 2.0, -v[60:61]
	v_fma_f64 v[96:97], v[98:99], 2.0, -v[62:63]
	;; [unrolled: 1-line block ×3, first 2 shown]
	global_wb scope:SCOPE_SE
	s_wait_dscnt 0x0
	s_barrier_signal -1
	s_barrier_wait -1
	global_inv scope:SCOPE_SE
	ds_store_2addr_b64 v57, v[44:45], v[106:107] offset0:16 offset1:232
	ds_store_2addr_b64 v165, v[48:49], v[86:87] offset1:216
	ds_store_2addr_b64 v117, v[82:83], v[78:79] offset1:216
	ds_store_2addr_b64 v118, v[46:47], v[112:113] offset0:16 offset1:232
	ds_store_2addr_b64 v116, v[88:89], v[76:77] offset0:8 offset1:224
	;; [unrolled: 1-line block ×3, first 2 shown]
	ds_store_2addr_b64 v120, v[90:91], v[92:93] offset1:216
	ds_store_2addr_b64 v121, v[60:61], v[38:39] offset0:16 offset1:232
	ds_store_2addr_b64 v119, v[96:97], v[104:105] offset1:216
	ds_store_2addr_b64 v124, v[62:63], v[55:56] offset0:16 offset1:232
	ds_store_2addr_b64 v122, v[98:99], v[114:115] offset0:32 offset1:248
	;; [unrolled: 1-line block ×3, first 2 shown]
	global_wb scope:SCOPE_SE
	s_wait_dscnt 0x0
	s_barrier_signal -1
	s_barrier_wait -1
	global_inv scope:SCOPE_SE
	s_and_saveexec_b32 s0, vcc_lo
	s_cbranch_execz .LBB0_15
; %bb.14:
	v_mul_i32_i24_e32 v50, 3, v171
	v_mul_i32_i24_e32 v192, 0xffffffd8, v150
	v_mad_co_u64_u32 v[171:172], null, s8, v163, 0
	v_mad_co_u64_u32 v[180:181], null, s8, v161, 0
	s_delay_alu instid0(VALU_DEP_4) | instskip(SKIP_4) | instid1(VALU_DEP_4)
	v_lshlrev_b64_e32 v[36:37], 4, v[50:51]
	v_mul_i32_i24_e32 v50, 3, v169
	v_mul_i32_i24_e32 v169, 0xffffffd8, v151
	v_mad_co_u64_u32 v[182:183], null, s8, v162, 0
	v_add_nc_u32_e32 v199, v170, v192
	v_lshlrev_b64_e32 v[38:39], 4, v[50:51]
	v_mul_i32_i24_e32 v50, 3, v150
	v_add_nc_u32_e32 v200, v168, v169
	v_mad_co_u64_u32 v[184:185], null, s8, v156, 0
	v_mad_co_u64_u32 v[186:187], null, s8, v160, 0
	s_delay_alu instid0(VALU_DEP_4) | instskip(SKIP_4) | instid1(VALU_DEP_4)
	v_lshlrev_b64_e32 v[40:41], 4, v[50:51]
	v_mul_i32_i24_e32 v50, 3, v151
	v_mad_co_u64_u32 v[150:151], null, s8, v157, 0
	v_lshrrev_b32_e32 v194, 5, v154
	v_mad_co_u64_u32 v[188:189], null, s8, v158, 0
	v_lshlrev_b64_e32 v[42:43], 4, v[50:51]
	v_add_co_u32 v52, vcc_lo, s4, v40
	s_wait_alu 0xfffd
	v_add_co_ci_u32_e32 v53, vcc_lo, s5, v41, vcc_lo
	v_mul_i32_i24_e32 v50, 3, v164
	s_delay_alu instid0(VALU_DEP_4)
	v_add_co_u32 v55, vcc_lo, s4, v42
	s_wait_alu 0xfffd
	v_add_co_ci_u32_e32 v56, vcc_lo, s5, v43, vcc_lo
	s_clause 0x1
	global_load_b128 v[104:107], v[52:53], off offset:13744
	global_load_b128 v[96:99], v[55:56], off offset:13744
	v_lshlrev_b64_e32 v[42:43], 4, v[50:51]
	v_add_co_u32 v40, s0, s4, v54
	s_wait_alu 0xf1fe
	v_add_co_ci_u32_e64 v41, null, s5, 0, s0
	v_mul_i32_i24_e32 v164, 0xffffffd8, v164
	s_delay_alu instid0(VALU_DEP_4)
	v_add_co_u32 v42, vcc_lo, s4, v42
	s_wait_alu 0xfffd
	v_add_co_ci_u32_e32 v43, vcc_lo, s5, v43, vcc_lo
	s_clause 0x5
	global_load_b128 v[124:127], v[40:41], off offset:13744
	global_load_b128 v[120:123], v[42:43], off offset:13744
	;; [unrolled: 1-line block ×6, first 2 shown]
	v_add_co_u32 v36, vcc_lo, s4, v36
	s_wait_alu 0xfffd
	v_add_co_ci_u32_e32 v37, vcc_lo, s5, v37, vcc_lo
	s_clause 0x1
	global_load_b128 v[84:87], v[36:37], off offset:13744
	global_load_b128 v[76:79], v[36:37], off offset:13728
	v_add_co_u32 v44, vcc_lo, s4, v38
	s_wait_alu 0xfffd
	v_add_co_ci_u32_e32 v45, vcc_lo, s5, v39, vcc_lo
	s_clause 0x7
	global_load_b128 v[80:83], v[36:37], off offset:13760
	global_load_b128 v[40:43], v[44:45], off offset:13728
	;; [unrolled: 1-line block ×8, first 2 shown]
	ds_load_2addr_b64 v[176:179], v65 offset0:96 offset1:240
	ds_load_2addr_b64 v[64:67], v64 offset1:144
	ds_load_2addr_b64 v[132:135], v70 offset0:64 offset1:208
	v_add_nc_u32_e32 v201, v167, v164
	ds_load_2addr_b64 v[88:91], v72 offset1:144
	ds_load_2addr_b64 v[68:71], v71 offset0:32 offset1:176
	ds_load_2addr_b64 v[72:75], v73 offset0:96 offset1:240
	;; [unrolled: 1-line block ×4, first 2 shown]
	v_lshrrev_b32_e32 v175, 5, v152
	v_mad_co_u64_u32 v[190:191], null, s8, v159, 0
	v_mov_b32_e32 v164, v172
	v_mov_b32_e32 v172, v181
	s_delay_alu instid0(VALU_DEP_4)
	v_mul_hi_u32 v202, 0x97b425f, v175
	v_lshrrev_b32_e32 v193, 5, v153
	v_lshrrev_b32_e32 v195, 5, v155
	v_mul_hi_u32 v204, 0x97b425f, v194
	v_mov_b32_e32 v181, v185
	v_mad_co_u64_u32 v[163:164], null, s9, v163, v[164:165]
	v_mul_hi_u32 v203, 0x97b425f, v193
	v_mul_hi_u32 v205, 0x97b425f, v195
	v_mad_co_u64_u32 v[192:193], null, s9, v157, v[151:152]
	v_mad_u32_u24 v164, 0xa20, v202, v152
	v_mov_b32_e32 v151, v187
	v_mad_co_u64_u32 v[193:194], null, s9, v161, v[172:173]
	s_delay_alu instid0(VALU_DEP_3)
	v_dual_mov_b32 v157, v189 :: v_dual_add_nc_u32 v206, 0xa20, v164
	v_mov_b32_e32 v175, v183
	v_mad_co_u64_u32 v[194:195], null, s9, v156, v[181:182]
	v_mov_b32_e32 v156, v191
	v_mad_u32_u24 v202, 0xa20, v204, v154
	v_add_nc_u32_e32 v204, 0x360, v164
	v_mad_co_u64_u32 v[195:196], null, s9, v160, v[151:152]
	v_mad_co_u64_u32 v[196:197], null, s9, v158, v[157:158]
	s_wait_dscnt 0x7
	v_mad_co_u64_u32 v[161:162], null, s9, v162, v[175:176]
	v_mad_co_u64_u32 v[197:198], null, s9, v159, v[156:157]
	v_mad_u32_u24 v198, 0xa20, v203, v153
	v_mad_u32_u24 v203, 0xa20, v205, v155
	v_dual_mov_b32 v172, v163 :: v_dual_add_nc_u32 v205, 0x6c0, v164
	s_delay_alu instid0(VALU_DEP_3) | instskip(SKIP_2) | instid1(VALU_DEP_3)
	v_dual_mov_b32 v151, v192 :: v_dual_add_nc_u32 v208, 0x6c0, v198
	v_dual_mov_b32 v181, v193 :: v_dual_add_nc_u32 v192, 0x360, v202
	v_mov_b32_e32 v187, v195
	v_lshlrev_b64_e32 v[150:151], 4, v[150:151]
	v_add_co_u32 v136, vcc_lo, s10, v136
	s_wait_alu 0xfffd
	v_add_co_ci_u32_e32 v137, vcc_lo, s11, v137, vcc_lo
	v_lshlrev_b64_e32 v[171:172], 4, v[171:172]
	v_dual_mov_b32 v183, v161 :: v_dual_add_nc_u32 v210, 0x6c0, v202
	v_add_co_u32 v150, vcc_lo, v136, v150
	v_dual_mov_b32 v185, v194 :: v_dual_add_nc_u32 v212, 0x360, v203
	s_wait_alu 0xfffd
	v_add_co_ci_u32_e32 v151, vcc_lo, v137, v151, vcc_lo
	ds_load_2addr_b64 v[156:159], v174 offset0:64 offset1:208
	v_mad_co_u64_u32 v[174:175], null, s8, v204, 0
	v_mov_b32_e32 v189, v196
	v_mad_co_u64_u32 v[160:161], null, s8, v203, 0
	v_add_nc_u32_e32 v207, 0x360, v198
	v_mov_b32_e32 v191, v197
	s_wait_loadcnt 0x11
	v_mul_f64_e32 v[167:168], v[34:35], v[106:107]
	v_mul_f64_e32 v[106:107], v[178:179], v[106:107]
	s_wait_loadcnt 0x10
	v_mul_f64_e32 v[169:170], v[32:33], v[98:99]
	v_mul_f64_e32 v[98:99], v[176:177], v[98:99]
	s_wait_loadcnt_dscnt 0xd02
	v_mul_f64_e32 v[162:163], v[118:119], v[128:129]
	v_mul_f64_e32 v[118:119], v[24:25], v[118:119]
	;; [unrolled: 1-line block ×4, first 2 shown]
	v_fma_f64 v[154:155], v[104:105], v[178:179], -v[167:168]
	v_fma_f64 v[34:35], v[34:35], v[104:105], v[106:107]
	v_fma_f64 v[106:107], v[96:97], v[176:177], -v[169:170]
	s_wait_loadcnt 0xc
	v_mul_f64_e32 v[169:170], v[114:115], v[130:131]
	s_wait_loadcnt_dscnt 0xb01
	v_mul_f64_e32 v[178:179], v[102:103], v[108:109]
	v_mul_f64_e32 v[102:103], v[20:21], v[102:103]
	;; [unrolled: 1-line block ×4, first 2 shown]
	v_fma_f64 v[32:33], v[32:33], v[96:97], v[98:99]
	v_mad_co_u64_u32 v[98:99], null, s8, v198, 0
	v_mul_f64_e32 v[96:97], v[134:135], v[122:123]
	v_fma_f64 v[24:25], v[24:25], v[116:117], v[162:163]
	v_fma_f64 v[116:117], v[116:117], v[128:129], -v[118:119]
	v_lshlrev_b64_e32 v[118:119], 4, v[180:181]
	v_lshlrev_b64_e32 v[180:181], 4, v[186:187]
	s_wait_loadcnt 0xa
	v_mul_f64_e32 v[186:187], v[94:95], v[110:111]
	v_mul_f64_e32 v[94:95], v[22:23], v[94:95]
	v_lshlrev_b64_e32 v[128:129], 4, v[182:183]
	v_mad_co_u64_u32 v[104:105], null, s8, v164, 0
	v_lshlrev_b64_e32 v[162:163], 4, v[184:185]
	v_mad_co_u64_u32 v[122:123], null, s8, v202, 0
	v_fma_f64 v[132:133], v[124:125], v[132:133], -v[152:153]
	v_fma_f64 v[28:29], v[28:29], v[124:125], v[126:127]
	v_mad_co_u64_u32 v[124:125], null, s8, v205, 0
	v_lshlrev_b64_e32 v[182:183], 4, v[188:189]
	v_mad_co_u64_u32 v[126:127], null, s8, v206, 0
	v_lshlrev_b64_e32 v[184:185], 4, v[190:191]
	v_mad_co_u64_u32 v[176:177], null, s8, v210, 0
	v_fma_f64 v[26:27], v[26:27], v[112:113], v[169:170]
	v_mad_co_u64_u32 v[169:170], null, s9, v198, v[99:100]
	v_fma_f64 v[20:21], v[20:21], v[100:101], v[178:179]
	v_fma_f64 v[100:101], v[100:101], v[108:109], -v[102:103]
	v_add_co_u32 v170, vcc_lo, v136, v171
	s_wait_alu 0xfffd
	v_add_co_ci_u32_e32 v171, vcc_lo, v137, v172, vcc_lo
	v_add_co_u32 v118, vcc_lo, v136, v118
	s_wait_alu 0xfffd
	v_add_co_ci_u32_e32 v119, vcc_lo, v137, v119, vcc_lo
	v_add_co_u32 v128, vcc_lo, v136, v128
	v_fma_f64 v[134:135], v[120:121], v[134:135], -v[167:168]
	v_mad_co_u64_u32 v[167:168], null, s8, v208, 0
	s_wait_alu 0xfffd
	v_add_co_ci_u32_e32 v129, vcc_lo, v137, v129, vcc_lo
	v_add_co_u32 v102, vcc_lo, v136, v162
	v_fma_f64 v[112:113], v[112:113], v[130:131], -v[114:115]
	v_mov_b32_e32 v114, v161
	v_mad_co_u64_u32 v[130:131], null, s9, v164, v[105:106]
	v_mov_b32_e32 v105, v175
	s_wait_alu 0xfffd
	v_add_co_ci_u32_e32 v103, vcc_lo, v137, v163, vcc_lo
	v_add_co_u32 v108, vcc_lo, v136, v180
	s_wait_alu 0xfffd
	v_add_co_ci_u32_e32 v109, vcc_lo, v137, v181, vcc_lo
	v_mad_co_u64_u32 v[180:181], null, s9, v202, v[123:124]
	v_add_co_u32 v162, vcc_lo, v136, v182
	v_mad_co_u64_u32 v[181:182], null, s9, v204, v[105:106]
	v_mov_b32_e32 v105, v168
	v_mad_co_u64_u32 v[152:153], null, s8, v207, 0
	v_fma_f64 v[30:31], v[30:31], v[120:121], v[96:97]
	v_mov_b32_e32 v115, v125
	s_delay_alu instid0(VALU_DEP_4)
	v_mad_co_u64_u32 v[188:189], null, s9, v208, v[105:106]
	v_add_nc_u32_e32 v209, 0xa20, v198
	v_mov_b32_e32 v99, v127
	v_mov_b32_e32 v125, v153
	s_wait_alu 0xfffd
	v_add_co_ci_u32_e32 v163, vcc_lo, v137, v183, vcc_lo
	v_fma_f64 v[22:23], v[22:23], v[92:93], v[186:187]
	v_mov_b32_e32 v168, v188
	v_mad_co_u64_u32 v[96:97], null, s8, v209, 0
	v_fma_f64 v[92:93], v[92:93], v[110:111], -v[94:95]
	s_wait_loadcnt 0x8
	v_mul_f64_e32 v[94:95], v[78:79], v[70:71]
	v_mul_f64_e32 v[78:79], v[18:19], v[78:79]
	v_add_co_u32 v178, vcc_lo, v136, v184
	v_mad_co_u64_u32 v[182:183], null, s9, v205, v[115:116]
	v_mad_co_u64_u32 v[183:184], null, s9, v206, v[99:100]
	s_wait_alu 0xfffd
	v_add_co_ci_u32_e32 v179, vcc_lo, v137, v185, vcc_lo
	v_mad_co_u64_u32 v[184:185], null, s9, v207, v[125:126]
	v_mad_co_u64_u32 v[189:190], null, s9, v209, v[97:98]
	v_mul_f64_e32 v[185:186], v[6:7], v[86:87]
	v_mul_f64_e32 v[86:87], v[90:91], v[86:87]
	s_wait_loadcnt 0x7
	v_mul_f64_e32 v[190:191], v[82:83], v[74:75]
	v_mul_f64_e32 v[82:83], v[14:15], v[82:83]
	v_mad_co_u64_u32 v[120:121], null, s8, v192, 0
	v_mov_b32_e32 v105, v130
	s_wait_loadcnt 0x6
	v_mul_f64_e32 v[130:131], v[42:43], v[68:69]
	v_mov_b32_e32 v125, v182
	v_mov_b32_e32 v127, v183
	v_mul_f64_e32 v[42:43], v[16:17], v[42:43]
	s_wait_loadcnt 0x4
	v_mul_f64_e32 v[182:183], v[46:47], v[72:73]
	v_mov_b32_e32 v99, v121
	v_mul_f64_e32 v[46:47], v[12:13], v[46:47]
	v_mad_co_u64_u32 v[114:115], null, s9, v203, v[114:115]
	v_mov_b32_e32 v97, v177
	s_delay_alu instid0(VALU_DEP_4)
	v_mad_co_u64_u32 v[110:111], null, s9, v192, v[99:100]
	v_mul_f64_e32 v[192:193], v[4:5], v[38:39]
	v_mul_f64_e32 v[38:39], v[88:89], v[38:39]
	v_mov_b32_e32 v99, v169
	v_mov_b32_e32 v161, v114
	v_mad_co_u64_u32 v[114:115], null, s8, v212, 0
	v_fma_f64 v[18:19], v[18:19], v[76:77], v[94:95]
	v_fma_f64 v[70:71], v[76:77], v[70:71], -v[78:79]
	s_wait_loadcnt 0x2
	v_mul_f64_e32 v[76:77], v[0:1], v[62:63]
	s_wait_loadcnt 0x1
	v_mul_f64_e32 v[78:79], v[8:9], v[58:59]
	v_mul_f64_e32 v[62:63], v[62:63], v[64:65]
	s_wait_dscnt 0x0
	v_mul_f64_e32 v[58:59], v[58:59], v[156:157]
	v_add_nc_u32_e32 v211, 0xa20, v202
	v_add_nc_u32_e32 v169, 0x6c0, v203
	v_mad_co_u64_u32 v[194:195], null, s9, v210, v[97:98]
	v_mov_b32_e32 v123, v180
	v_mov_b32_e32 v175, v181
	s_delay_alu instid0(VALU_DEP_4)
	v_mad_co_u64_u32 v[180:181], null, s8, v169, 0
	v_fma_f64 v[90:91], v[84:85], v[90:91], -v[185:186]
	v_fma_f64 v[6:7], v[6:7], v[84:85], v[86:87]
	v_mul_f64_e32 v[84:85], v[50:51], v[66:67]
	v_mul_f64_e32 v[50:51], v[2:3], v[50:51]
	v_fma_f64 v[14:15], v[14:15], v[80:81], v[190:191]
	v_fma_f64 v[74:75], v[80:81], v[74:75], -v[82:83]
	s_wait_loadcnt 0x0
	v_mul_f64_e32 v[80:81], v[10:11], v[54:55]
	v_mul_f64_e32 v[54:55], v[54:55], v[158:159]
	v_add_nc_u32_e32 v187, 0xa20, v203
	v_fma_f64 v[16:17], v[16:17], v[40:41], v[130:131]
	v_mov_b32_e32 v121, v110
	v_fma_f64 v[12:13], v[12:13], v[44:45], v[182:183]
	v_fma_f64 v[40:41], v[40:41], v[68:69], -v[42:43]
	v_mad_co_u64_u32 v[86:87], null, s8, v187, 0
	v_fma_f64 v[42:43], v[44:45], v[72:73], -v[46:47]
	v_mov_b32_e32 v153, v184
	v_add_f64_e64 v[20:21], v[24:25], -v[20:21]
	v_fma_f64 v[82:83], v[36:37], v[88:89], -v[192:193]
	v_mov_b32_e32 v88, v115
	v_mad_co_u64_u32 v[195:196], null, s8, v211, 0
	v_mov_b32_e32 v89, v181
	v_fma_f64 v[4:5], v[4:5], v[36:37], v[38:39]
	v_add_f64_e64 v[72:73], v[112:113], -v[92:93]
	v_add_f64_e64 v[22:23], v[26:27], -v[22:23]
	v_fma_f64 v[64:65], v[60:61], v[64:65], -v[76:77]
	v_fma_f64 v[76:77], v[56:57], v[156:157], -v[78:79]
	v_mov_b32_e32 v111, v196
	v_fma_f64 v[0:1], v[0:1], v[60:61], v[62:63]
	v_fma_f64 v[8:9], v[8:9], v[56:57], v[58:59]
	v_add_f64_e64 v[62:63], v[148:149], -v[28:29]
	v_add_f64_e64 v[28:29], v[116:117], -v[100:101]
	v_mad_co_u64_u32 v[94:95], null, s9, v211, v[111:112]
	ds_load_b64 v[110:111], v173
	ds_load_b64 v[130:131], v166
	;; [unrolled: 1-line block ×3, first 2 shown]
	v_mad_co_u64_u32 v[172:173], null, s9, v212, v[88:89]
	v_mad_co_u64_u32 v[88:89], null, s9, v169, v[89:90]
	v_fma_f64 v[2:3], v[2:3], v[48:49], v[84:85]
	v_fma_f64 v[50:51], v[48:49], v[66:67], -v[50:51]
	ds_load_b64 v[184:185], v199
	v_mov_b32_e32 v196, v94
	ds_load_b64 v[94:95], v200
	v_fma_f64 v[56:57], v[52:53], v[158:159], -v[80:81]
	v_fma_f64 v[10:11], v[10:11], v[52:53], v[54:55]
	v_mad_co_u64_u32 v[186:187], null, s9, v187, v[87:88]
	ds_load_b64 v[187:188], v201
	v_add_f64_e64 v[66:67], v[70:71], -v[74:75]
	v_add_f64_e64 v[74:75], v[144:145], -v[30:31]
	;; [unrolled: 1-line block ×3, first 2 shown]
	v_mov_b32_e32 v181, v88
	v_lshlrev_b64_e32 v[38:39], 4, v[124:125]
	s_wait_dscnt 0x3
	v_add_f64_e64 v[60:61], v[164:165], -v[132:133]
	v_mov_b32_e32 v87, v186
	v_add_f64_e64 v[80:81], v[130:131], -v[82:83]
	v_add_f64_e64 v[88:89], v[110:111], -v[90:91]
	;; [unrolled: 1-line block ×4, first 2 shown]
	v_lshlrev_b64_e32 v[124:125], 4, v[86:87]
	s_wait_dscnt 0x2
	v_add_f64_e64 v[82:83], v[184:185], -v[154:155]
	v_add_f64_e64 v[86:87], v[16:17], -v[12:13]
	s_wait_dscnt 0x1
	v_add_f64_e64 v[78:79], v[94:95], -v[106:107]
	v_add_f64_e64 v[30:31], v[64:65], -v[76:77]
	;; [unrolled: 1-line block ×5, first 2 shown]
	s_wait_dscnt 0x0
	v_add_f64_e64 v[68:69], v[187:188], -v[134:135]
	v_add_f64_e64 v[14:15], v[18:19], -v[14:15]
	v_lshlrev_b64_e32 v[44:45], 4, v[126:127]
	v_fma_f64 v[132:133], v[148:149], 2.0, -v[62:63]
	v_fma_f64 v[4:5], v[116:117], 2.0, -v[28:29]
	;; [unrolled: 1-line block ×5, first 2 shown]
	v_lshlrev_b64_e32 v[104:105], 4, v[104:105]
	v_lshlrev_b64_e32 v[98:99], 4, v[98:99]
	;; [unrolled: 1-line block ×6, first 2 shown]
	v_add_f64_e64 v[56:57], v[50:51], -v[56:57]
	v_add_f64_e64 v[34:35], v[2:3], -v[10:11]
	v_add_co_u32 v104, vcc_lo, v136, v104
	s_wait_alu 0xfffd
	v_add_co_ci_u32_e32 v105, vcc_lo, v137, v105, vcc_lo
	v_fma_f64 v[112:113], v[144:145], 2.0, -v[74:75]
	v_fma_f64 v[140:141], v[140:141], 2.0, -v[84:85]
	;; [unrolled: 1-line block ×3, first 2 shown]
	v_add_co_u32 v98, vcc_lo, v136, v98
	v_fma_f64 v[126:127], v[164:165], 2.0, -v[60:61]
	v_fma_f64 v[130:131], v[130:131], 2.0, -v[80:81]
	;; [unrolled: 1-line block ×5, first 2 shown]
	s_wait_alu 0xfffd
	v_add_co_ci_u32_e32 v99, vcc_lo, v137, v99, vcc_lo
	v_fma_f64 v[146:147], v[16:17], 2.0, -v[86:87]
	v_fma_f64 v[94:95], v[94:95], 2.0, -v[78:79]
	;; [unrolled: 1-line block ×9, first 2 shown]
	v_add_f64_e32 v[0:1], v[62:63], v[28:29]
	v_add_co_u32 v106, vcc_lo, v136, v122
	v_add_f64_e64 v[8:9], v[132:133], -v[8:9]
	s_wait_alu 0xfffd
	v_add_co_ci_u32_e32 v107, vcc_lo, v137, v123, vcc_lo
	v_add_f64_e64 v[6:7], v[88:89], -v[14:15]
	v_add_f64_e64 v[14:15], v[68:69], -v[22:23]
	v_add_co_u32 v122, vcc_lo, v136, v160
	s_wait_alu 0xfffd
	v_add_co_ci_u32_e32 v123, vcc_lo, v137, v161, vcc_lo
	v_fma_f64 v[50:51], v[50:51], 2.0, -v[56:57]
	v_fma_f64 v[144:145], v[2:3], 2.0, -v[34:35]
	v_add_f64_e64 v[2:3], v[60:61], -v[20:21]
	v_add_co_u32 v152, vcc_lo, v136, v36
	v_add_f64_e64 v[16:17], v[112:113], -v[24:25]
	v_add_f64_e64 v[22:23], v[78:79], -v[32:33]
	v_add_f64_e32 v[20:21], v[76:77], v[30:31]
	s_wait_alu 0xfffd
	v_add_co_ci_u32_e32 v153, vcc_lo, v137, v37, vcc_lo
	v_add_f64_e64 v[10:11], v[126:127], -v[4:5]
	v_add_co_u32 v154, vcc_lo, v136, v38
	v_add_f64_e64 v[30:31], v[82:83], -v[34:35]
	v_add_f64_e32 v[28:29], v[84:85], v[56:57]
	s_wait_alu 0xfffd
	v_add_co_ci_u32_e32 v155, vcc_lo, v137, v39, vcc_lo
	v_add_co_u32 v156, vcc_lo, v136, v44
	v_add_f64_e64 v[26:27], v[94:95], -v[26:27]
	s_wait_alu 0xfffd
	v_add_co_ci_u32_e32 v157, vcc_lo, v137, v45, vcc_lo
	v_add_f64_e64 v[24:25], v[64:65], -v[42:43]
	v_add_f64_e64 v[18:19], v[134:135], -v[12:13]
	v_add_f64_e32 v[12:13], v[74:75], v[72:73]
	v_add_f64_e64 v[42:43], v[130:131], -v[40:41]
	v_add_f64_e64 v[40:41], v[138:139], -v[146:147]
	v_add_f64_e64 v[38:39], v[80:81], -v[86:87]
	v_add_f64_e32 v[36:37], v[92:93], v[90:91]
	v_add_co_u32 v158, vcc_lo, v136, v46
	s_wait_alu 0xfffd
	v_add_co_ci_u32_e32 v159, vcc_lo, v137, v47, vcc_lo
	v_add_f64_e64 v[46:47], v[110:111], -v[70:71]
	v_add_f64_e64 v[44:45], v[116:117], -v[148:149]
	v_add_f64_e32 v[4:5], v[100:101], v[66:67]
	v_mov_b32_e32 v97, v189
	v_lshlrev_b64_e32 v[48:49], 4, v[167:168]
	v_add_f64_e64 v[34:35], v[142:143], -v[50:51]
	v_add_f64_e64 v[32:33], v[140:141], -v[144:145]
	v_mov_b32_e32 v177, v194
	v_lshlrev_b64_e32 v[52:53], 4, v[96:97]
	v_lshlrev_b64_e32 v[54:55], 4, v[120:121]
	v_add_co_u32 v144, vcc_lo, v136, v48
	s_wait_alu 0xfffd
	v_add_co_ci_u32_e32 v145, vcc_lo, v137, v49, vcc_lo
	s_delay_alu instid0(VALU_DEP_4)
	v_add_co_u32 v146, vcc_lo, v136, v52
	v_lshlrev_b64_e32 v[58:59], 4, v[176:177]
	s_wait_alu 0xfffd
	v_add_co_ci_u32_e32 v147, vcc_lo, v137, v53, vcc_lo
	v_add_co_u32 v148, vcc_lo, v136, v54
	s_wait_alu 0xfffd
	v_add_co_ci_u32_e32 v149, vcc_lo, v137, v55, vcc_lo
	v_fma_f64 v[54:55], v[126:127], 2.0, -v[10:11]
	v_fma_f64 v[52:53], v[132:133], 2.0, -v[8:9]
	;; [unrolled: 1-line block ×4, first 2 shown]
	v_add_co_u32 v160, vcc_lo, v136, v58
	v_fma_f64 v[62:63], v[134:135], 2.0, -v[18:19]
	v_fma_f64 v[60:61], v[112:113], 2.0, -v[16:17]
	s_wait_alu 0xfffd
	v_add_co_ci_u32_e32 v161, vcc_lo, v137, v59, vcc_lo
	v_fma_f64 v[58:59], v[68:69], 2.0, -v[14:15]
	v_fma_f64 v[56:57], v[74:75], 2.0, -v[12:13]
	;; [unrolled: 1-line block ×14, first 2 shown]
	v_mov_b32_e32 v115, v172
	v_fma_f64 v[94:95], v[110:111], 2.0, -v[46:47]
	v_fma_f64 v[92:93], v[116:117], 2.0, -v[44:45]
	v_lshlrev_b64_e32 v[96:97], 4, v[195:196]
	v_fma_f64 v[90:91], v[88:89], 2.0, -v[6:7]
	v_fma_f64 v[88:89], v[100:101], 2.0, -v[4:5]
	v_lshlrev_b64_e32 v[114:115], 4, v[114:115]
	v_lshlrev_b64_e32 v[120:121], 4, v[180:181]
	v_add_co_u32 v96, vcc_lo, v136, v96
	s_wait_alu 0xfffd
	v_add_co_ci_u32_e32 v97, vcc_lo, v137, v97, vcc_lo
	s_delay_alu instid0(VALU_DEP_4)
	v_add_co_u32 v100, vcc_lo, v136, v114
	s_wait_alu 0xfffd
	v_add_co_ci_u32_e32 v101, vcc_lo, v137, v115, vcc_lo
	v_add_co_u32 v110, vcc_lo, v136, v120
	s_wait_alu 0xfffd
	v_add_co_ci_u32_e32 v111, vcc_lo, v137, v121, vcc_lo
	;; [unrolled: 3-line block ×3, first 2 shown]
	s_clause 0x17
	global_store_b128 v[150:151], v[52:55], off
	global_store_b128 v[170:171], v[48:51], off
	;; [unrolled: 1-line block ×24, first 2 shown]
.LBB0_15:
	s_nop 0
	s_sendmsg sendmsg(MSG_DEALLOC_VGPRS)
	s_endpgm
	.section	.rodata,"a",@progbits
	.p2align	6, 0x0
	.amdhsa_kernel fft_rtc_back_len3456_factors_6_6_6_4_4_wgs_144_tpt_144_halfLds_dp_ip_CI_sbrr_dirReg
		.amdhsa_group_segment_fixed_size 0
		.amdhsa_private_segment_fixed_size 0
		.amdhsa_kernarg_size 88
		.amdhsa_user_sgpr_count 2
		.amdhsa_user_sgpr_dispatch_ptr 0
		.amdhsa_user_sgpr_queue_ptr 0
		.amdhsa_user_sgpr_kernarg_segment_ptr 1
		.amdhsa_user_sgpr_dispatch_id 0
		.amdhsa_user_sgpr_private_segment_size 0
		.amdhsa_wavefront_size32 1
		.amdhsa_uses_dynamic_stack 0
		.amdhsa_enable_private_segment 0
		.amdhsa_system_sgpr_workgroup_id_x 1
		.amdhsa_system_sgpr_workgroup_id_y 0
		.amdhsa_system_sgpr_workgroup_id_z 0
		.amdhsa_system_sgpr_workgroup_info 0
		.amdhsa_system_vgpr_workitem_id 0
		.amdhsa_next_free_vgpr 213
		.amdhsa_next_free_sgpr 35
		.amdhsa_reserve_vcc 1
		.amdhsa_float_round_mode_32 0
		.amdhsa_float_round_mode_16_64 0
		.amdhsa_float_denorm_mode_32 3
		.amdhsa_float_denorm_mode_16_64 3
		.amdhsa_fp16_overflow 0
		.amdhsa_workgroup_processor_mode 1
		.amdhsa_memory_ordered 1
		.amdhsa_forward_progress 0
		.amdhsa_round_robin_scheduling 0
		.amdhsa_exception_fp_ieee_invalid_op 0
		.amdhsa_exception_fp_denorm_src 0
		.amdhsa_exception_fp_ieee_div_zero 0
		.amdhsa_exception_fp_ieee_overflow 0
		.amdhsa_exception_fp_ieee_underflow 0
		.amdhsa_exception_fp_ieee_inexact 0
		.amdhsa_exception_int_div_zero 0
	.end_amdhsa_kernel
	.text
.Lfunc_end0:
	.size	fft_rtc_back_len3456_factors_6_6_6_4_4_wgs_144_tpt_144_halfLds_dp_ip_CI_sbrr_dirReg, .Lfunc_end0-fft_rtc_back_len3456_factors_6_6_6_4_4_wgs_144_tpt_144_halfLds_dp_ip_CI_sbrr_dirReg
                                        ; -- End function
	.section	.AMDGPU.csdata,"",@progbits
; Kernel info:
; codeLenInByte = 16716
; NumSgprs: 37
; NumVgprs: 213
; ScratchSize: 0
; MemoryBound: 1
; FloatMode: 240
; IeeeMode: 1
; LDSByteSize: 0 bytes/workgroup (compile time only)
; SGPRBlocks: 4
; VGPRBlocks: 26
; NumSGPRsForWavesPerEU: 37
; NumVGPRsForWavesPerEU: 213
; Occupancy: 7
; WaveLimiterHint : 1
; COMPUTE_PGM_RSRC2:SCRATCH_EN: 0
; COMPUTE_PGM_RSRC2:USER_SGPR: 2
; COMPUTE_PGM_RSRC2:TRAP_HANDLER: 0
; COMPUTE_PGM_RSRC2:TGID_X_EN: 1
; COMPUTE_PGM_RSRC2:TGID_Y_EN: 0
; COMPUTE_PGM_RSRC2:TGID_Z_EN: 0
; COMPUTE_PGM_RSRC2:TIDIG_COMP_CNT: 0
	.text
	.p2alignl 7, 3214868480
	.fill 96, 4, 3214868480
	.type	__hip_cuid_193f1647a14f4c31,@object ; @__hip_cuid_193f1647a14f4c31
	.section	.bss,"aw",@nobits
	.globl	__hip_cuid_193f1647a14f4c31
__hip_cuid_193f1647a14f4c31:
	.byte	0                               ; 0x0
	.size	__hip_cuid_193f1647a14f4c31, 1

	.ident	"AMD clang version 19.0.0git (https://github.com/RadeonOpenCompute/llvm-project roc-6.4.0 25133 c7fe45cf4b819c5991fe208aaa96edf142730f1d)"
	.section	".note.GNU-stack","",@progbits
	.addrsig
	.addrsig_sym __hip_cuid_193f1647a14f4c31
	.amdgpu_metadata
---
amdhsa.kernels:
  - .args:
      - .actual_access:  read_only
        .address_space:  global
        .offset:         0
        .size:           8
        .value_kind:     global_buffer
      - .offset:         8
        .size:           8
        .value_kind:     by_value
      - .actual_access:  read_only
        .address_space:  global
        .offset:         16
        .size:           8
        .value_kind:     global_buffer
      - .actual_access:  read_only
        .address_space:  global
        .offset:         24
        .size:           8
        .value_kind:     global_buffer
      - .offset:         32
        .size:           8
        .value_kind:     by_value
      - .actual_access:  read_only
        .address_space:  global
        .offset:         40
        .size:           8
        .value_kind:     global_buffer
      - .actual_access:  read_only
        .address_space:  global
        .offset:         48
        .size:           8
        .value_kind:     global_buffer
      - .offset:         56
        .size:           4
        .value_kind:     by_value
      - .actual_access:  read_only
        .address_space:  global
        .offset:         64
        .size:           8
        .value_kind:     global_buffer
      - .actual_access:  read_only
        .address_space:  global
        .offset:         72
        .size:           8
        .value_kind:     global_buffer
      - .address_space:  global
        .offset:         80
        .size:           8
        .value_kind:     global_buffer
    .group_segment_fixed_size: 0
    .kernarg_segment_align: 8
    .kernarg_segment_size: 88
    .language:       OpenCL C
    .language_version:
      - 2
      - 0
    .max_flat_workgroup_size: 144
    .name:           fft_rtc_back_len3456_factors_6_6_6_4_4_wgs_144_tpt_144_halfLds_dp_ip_CI_sbrr_dirReg
    .private_segment_fixed_size: 0
    .sgpr_count:     37
    .sgpr_spill_count: 0
    .symbol:         fft_rtc_back_len3456_factors_6_6_6_4_4_wgs_144_tpt_144_halfLds_dp_ip_CI_sbrr_dirReg.kd
    .uniform_work_group_size: 1
    .uses_dynamic_stack: false
    .vgpr_count:     213
    .vgpr_spill_count: 0
    .wavefront_size: 32
    .workgroup_processor_mode: 1
amdhsa.target:   amdgcn-amd-amdhsa--gfx1201
amdhsa.version:
  - 1
  - 2
...

	.end_amdgpu_metadata
